;; amdgpu-corpus repo=ROCm/rocFFT kind=compiled arch=gfx1201 opt=O3
	.text
	.amdgcn_target "amdgcn-amd-amdhsa--gfx1201"
	.amdhsa_code_object_version 6
	.protected	bluestein_single_back_len220_dim1_half_op_CI_CI ; -- Begin function bluestein_single_back_len220_dim1_half_op_CI_CI
	.globl	bluestein_single_back_len220_dim1_half_op_CI_CI
	.p2align	8
	.type	bluestein_single_back_len220_dim1_half_op_CI_CI,@function
bluestein_single_back_len220_dim1_half_op_CI_CI: ; @bluestein_single_back_len220_dim1_half_op_CI_CI
; %bb.0:
	s_load_b128 s[12:15], s[0:1], 0x28
	v_mul_u32_u24_e32 v1, 0xba3, v0
	s_mov_b32 s2, exec_lo
	s_delay_alu instid0(VALU_DEP_1) | instskip(NEXT) | instid1(VALU_DEP_1)
	v_lshrrev_b32_e32 v1, 16, v1
	v_mad_co_u64_u32 v[8:9], null, ttmp9, 5, v[1:2]
	v_mov_b32_e32 v9, 0
	s_wait_kmcnt 0x0
	s_delay_alu instid0(VALU_DEP_1)
	v_cmpx_gt_u64_e64 s[12:13], v[8:9]
	s_cbranch_execz .LBB0_10
; %bb.1:
	s_clause 0x1
	s_load_b128 s[4:7], s[0:1], 0x18
	s_load_b128 s[8:11], s[0:1], 0x0
	v_mul_lo_u16 v1, v1, 22
                                        ; implicit-def: $vgpr95
                                        ; implicit-def: $vgpr96
	s_delay_alu instid0(VALU_DEP_1) | instskip(NEXT) | instid1(VALU_DEP_1)
	v_sub_nc_u16 v0, v0, v1
	v_and_b32_e32 v35, 0xffff, v0
	v_add_nc_u16 v15, v0, 22
	v_and_b32_e32 v14, 0xff, v0
	v_add_nc_u16 v16, v0, 44
	v_add_nc_u16 v18, v0, 0x58
	;; [unrolled: 1-line block ×3, first 2 shown]
	v_and_b32_e32 v19, 0xff, v15
	v_mul_lo_u16 v14, 0xcd, v14
	s_wait_kmcnt 0x0
	s_load_b128 s[16:19], s[4:5], 0x0
	v_and_b32_e32 v20, 0xff, v16
	v_and_b32_e32 v22, 0xff, v18
	;; [unrolled: 1-line block ×3, first 2 shown]
	v_lshrrev_b16 v14, 11, v14
	v_mul_lo_u16 v19, 0xcd, v19
	v_mul_lo_u16 v20, 0xcd, v20
	;; [unrolled: 1-line block ×5, first 2 shown]
	v_lshrrev_b16 v19, 11, v19
	v_lshrrev_b16 v20, 11, v20
	;; [unrolled: 1-line block ×4, first 2 shown]
	v_sub_nc_u16 v53, v0, v26
	v_mul_lo_u16 v48, v19, 10
	v_mul_lo_u16 v49, v20, 10
	v_mul_lo_u16 v51, v22, 10
	v_mul_lo_u16 v50, v21, 10
	s_wait_kmcnt 0x0
	v_mad_co_u64_u32 v[1:2], null, s18, v8, 0
	v_mad_co_u64_u32 v[3:4], null, s16, v35, 0
	s_mul_u64 s[2:3], s[16:17], 0x58
	s_delay_alu instid0(VALU_DEP_1) | instskip(NEXT) | instid1(VALU_DEP_1)
	v_mad_co_u64_u32 v[5:6], null, s19, v8, v[2:3]
	v_mov_b32_e32 v2, v5
	s_delay_alu instid0(VALU_DEP_3)
	v_mad_co_u64_u32 v[6:7], null, s17, v35, v[4:5]
	v_lshlrev_b32_e32 v46, 2, v35
	s_clause 0x7
	global_load_b32 v38, v46, s[8:9]
	global_load_b32 v39, v46, s[8:9] offset:88
	global_load_b32 v37, v46, s[8:9] offset:176
	;; [unrolled: 1-line block ×7, first 2 shown]
	v_mov_b32_e32 v4, v6
	v_lshlrev_b64_e32 v[1:2], 2, v[1:2]
	s_clause 0x1
	global_load_b32 v24, v46, s[8:9] offset:704
	global_load_b32 v23, v46, s[8:9] offset:792
	v_lshlrev_b64_e32 v[3:4], 2, v[3:4]
	v_add_co_u32 v1, vcc_lo, s14, v1
	v_add_co_ci_u32_e32 v2, vcc_lo, s15, v2, vcc_lo
	s_delay_alu instid0(VALU_DEP_2) | instskip(SKIP_1) | instid1(VALU_DEP_2)
	v_add_co_u32 v1, vcc_lo, v1, v3
	s_wait_alu 0xfffd
	v_add_co_ci_u32_e32 v2, vcc_lo, v2, v4, vcc_lo
	s_delay_alu instid0(VALU_DEP_2) | instskip(SKIP_1) | instid1(VALU_DEP_2)
	v_add_co_u32 v3, vcc_lo, v1, s2
	s_wait_alu 0xfffd
	v_add_co_ci_u32_e32 v4, vcc_lo, s3, v2, vcc_lo
	s_clause 0x1
	global_load_b32 v5, v[1:2], off
	global_load_b32 v6, v[3:4], off
	v_add_co_u32 v1, vcc_lo, v3, s2
	s_wait_alu 0xfffd
	v_add_co_ci_u32_e32 v2, vcc_lo, s3, v4, vcc_lo
	s_delay_alu instid0(VALU_DEP_2) | instskip(SKIP_1) | instid1(VALU_DEP_2)
	v_add_co_u32 v3, vcc_lo, v1, s2
	s_wait_alu 0xfffd
	v_add_co_ci_u32_e32 v4, vcc_lo, s3, v2, vcc_lo
	s_clause 0x1
	global_load_b32 v7, v[1:2], off
	global_load_b32 v9, v[3:4], off
	v_add_co_u32 v1, vcc_lo, v3, s2
	s_wait_alu 0xfffd
	v_add_co_ci_u32_e32 v2, vcc_lo, s3, v4, vcc_lo
	s_delay_alu instid0(VALU_DEP_2) | instskip(SKIP_1) | instid1(VALU_DEP_2)
	v_add_co_u32 v3, vcc_lo, v1, s2
	s_wait_alu 0xfffd
	v_add_co_ci_u32_e32 v4, vcc_lo, s3, v2, vcc_lo
	global_load_b32 v10, v[1:2], off
	v_add_co_u32 v1, vcc_lo, v3, s2
	s_wait_alu 0xfffd
	v_add_co_ci_u32_e32 v2, vcc_lo, s3, v4, vcc_lo
	global_load_b32 v11, v[3:4], off
	;; [unrolled: 4-line block ×5, first 2 shown]
	global_load_b32 v2, v[3:4], off
	v_mul_hi_u32 v3, 0xcccccccd, v8
	v_mul_lo_u16 v4, v0, 10
	s_load_b128 s[4:7], s[6:7], 0x0
	v_cmp_gt_u16_e32 vcc_lo, 20, v0
	v_and_b32_e32 v0, 0xffff, v20
	s_load_b64 s[2:3], s[0:1], 0x38
	v_and_b32_e32 v4, 0xffff, v4
	v_lshrrev_b32_e32 v3, 2, v3
	s_delay_alu instid0(VALU_DEP_1) | instskip(NEXT) | instid1(VALU_DEP_1)
	v_lshl_add_u32 v3, v3, 2, v3
	v_sub_nc_u32_e32 v3, v8, v3
	s_delay_alu instid0(VALU_DEP_1) | instskip(NEXT) | instid1(VALU_DEP_1)
	v_mul_u32_u24_e32 v3, 0xdc, v3
	v_lshlrev_b32_e32 v45, 2, v3
	s_delay_alu instid0(VALU_DEP_1)
	v_lshl_add_u32 v47, v4, 2, v45
	v_add_nc_u32_e32 v30, v46, v45
	s_wait_loadcnt 0x13
	v_lshrrev_b32_e32 v44, 16, v38
	s_wait_loadcnt 0x12
	v_lshrrev_b32_e32 v43, 16, v39
	;; [unrolled: 2-line block ×11, first 2 shown]
	v_mul_f16_e32 v4, v44, v5
	s_wait_loadcnt 0x8
	v_lshrrev_b32_e32 v54, 16, v6
	v_mul_f16_e32 v55, v43, v6
	v_mul_f16_e32 v52, v44, v3
	v_fma_f16 v3, v38, v3, -v4
	s_delay_alu instid0(VALU_DEP_4) | instskip(NEXT) | instid1(VALU_DEP_4)
	v_mul_f16_e32 v4, v43, v54
	v_fma_f16 v54, v39, v54, -v55
	s_delay_alu instid0(VALU_DEP_4) | instskip(NEXT) | instid1(VALU_DEP_3)
	v_fmac_f16_e32 v52, v38, v5
	v_fmac_f16_e32 v4, v39, v6
	s_wait_loadcnt 0x7
	v_lshrrev_b32_e32 v5, 16, v7
	v_mul_f16_e32 v55, v42, v7
	v_pack_b32_f16 v3, v52, v3
	s_wait_loadcnt 0x6
	v_lshrrev_b32_e32 v52, 16, v9
	v_pack_b32_f16 v4, v4, v54
	v_mul_f16_e32 v6, v42, v5
	v_fma_f16 v5, v37, v5, -v55
	v_mul_f16_e32 v55, v41, v9
	s_delay_alu instid0(VALU_DEP_3)
	v_fmac_f16_e32 v6, v37, v7
	s_wait_loadcnt 0x5
	v_lshrrev_b32_e32 v54, 16, v10
	v_mul_f16_e32 v7, v41, v52
	v_mul_f16_e32 v56, v40, v10
	v_fma_f16 v52, v33, v52, -v55
	v_pack_b32_f16 v5, v6, v5
	v_mul_f16_e32 v6, v40, v54
	v_fmac_f16_e32 v7, v33, v9
	v_fma_f16 v9, v32, v54, -v56
	s_wait_loadcnt 0x4
	v_lshrrev_b32_e32 v54, 16, v11
	v_mul_f16_e32 v55, v36, v11
	v_fmac_f16_e32 v6, v32, v10
	s_wait_loadcnt 0x3
	v_lshrrev_b32_e32 v10, 16, v12
	v_pack_b32_f16 v7, v7, v52
	v_mul_f16_e32 v52, v36, v54
	v_fma_f16 v54, v29, v54, -v55
	v_mul_f16_e32 v55, v34, v12
	v_pack_b32_f16 v6, v6, v9
	v_mul_f16_e32 v9, v34, v10
	v_fmac_f16_e32 v52, v29, v11
	s_wait_loadcnt 0x2
	v_lshrrev_b32_e32 v11, 16, v13
	v_fma_f16 v10, v27, v10, -v55
	v_mul_f16_e32 v55, v31, v13
	v_fmac_f16_e32 v9, v27, v12
	s_wait_loadcnt 0x1
	v_lshrrev_b32_e32 v12, 16, v1
	s_wait_loadcnt 0x0
	v_lshrrev_b32_e32 v57, 16, v2
	v_mul_f16_e32 v56, v31, v11
	v_fma_f16 v11, v25, v11, -v55
	v_mul_f16_e32 v55, v28, v1
	v_mul_f16_e32 v58, v28, v12
	;; [unrolled: 1-line block ×4, first 2 shown]
	v_fmac_f16_e32 v56, v25, v13
	v_fma_f16 v12, v24, v12, -v55
	v_fmac_f16_e32 v58, v24, v1
	v_fma_f16 v1, v23, v57, -v59
	v_fmac_f16_e32 v60, v23, v2
	v_pack_b32_f16 v2, v52, v54
	v_pack_b32_f16 v9, v9, v10
	;; [unrolled: 1-line block ×5, first 2 shown]
	ds_store_2addr_b32 v30, v3, v4 offset1:22
	ds_store_2addr_b32 v30, v5, v7 offset0:44 offset1:66
	ds_store_2addr_b32 v30, v6, v2 offset0:88 offset1:110
	;; [unrolled: 1-line block ×4, first 2 shown]
	v_sub_nc_u16 v11, v16, v49
	global_wb scope:SCOPE_SE
	s_wait_dscnt 0x0
	s_wait_kmcnt 0x0
	s_barrier_signal -1
	s_barrier_wait -1
	global_inv scope:SCOPE_SE
	ds_load_2addr_b32 v[1:2], v30 offset0:88 offset1:110
	ds_load_2addr_b32 v[3:4], v30 offset0:132 offset1:154
	;; [unrolled: 1-line block ×4, first 2 shown]
	v_sub_nc_u16 v16, v18, v51
	v_and_b32_e32 v18, 0xff, v11
	ds_load_2addr_b32 v[11:12], v30 offset1:22
	v_sub_nc_u16 v7, v15, v48
	v_sub_nc_u16 v15, v17, v50
	v_and_b32_e32 v13, 0xff, v53
	v_and_b32_e32 v16, 0xff, v16
	v_lshlrev_b32_e32 v50, 2, v18
	v_and_b32_e32 v17, 0xff, v7
	v_and_b32_e32 v15, 0xff, v15
	v_lshlrev_b32_e32 v13, 2, v13
	v_lshlrev_b32_e32 v52, 2, v16
	global_wb scope:SCOPE_SE
	s_wait_dscnt 0x0
	v_lshlrev_b32_e32 v17, 2, v17
	v_lshlrev_b32_e32 v51, 2, v15
	s_barrier_signal -1
	v_lshrrev_b32_e32 v55, 16, v1
	v_add_f16_e32 v48, v1, v3
	v_lshrrev_b32_e32 v49, 16, v5
	v_lshrrev_b32_e32 v54, 16, v9
	;; [unrolled: 1-line block ×3, first 2 shown]
	v_sub_f16_e32 v57, v9, v3
	v_sub_f16_e32 v58, v5, v1
	v_add_f16_e32 v59, v5, v9
	v_sub_f16_e32 v60, v3, v9
	v_sub_f16_e32 v61, v1, v5
	v_pk_add_f16 v62, v11, v5
	v_add_f16_e32 v65, v2, v4
	v_lshrrev_b32_e32 v66, 16, v6
	v_lshrrev_b32_e32 v67, 16, v10
	;; [unrolled: 1-line block ×4, first 2 shown]
	v_add_f16_e32 v72, v6, v10
	v_pk_add_f16 v75, v12, v6
	v_lshrrev_b32_e32 v63, 16, v11
	v_sub_f16_e32 v64, v1, v3
	v_sub_f16_e32 v70, v10, v4
	;; [unrolled: 1-line block ×5, first 2 shown]
	v_lshrrev_b32_e32 v76, 16, v12
	v_sub_f16_e32 v77, v2, v4
	v_fma_f16 v48, -0.5, v48, v11
	v_sub_f16_e32 v78, v49, v54
	v_sub_f16_e32 v79, v55, v56
	v_add_f16_e32 v57, v58, v57
	v_fma_f16 v11, -0.5, v59, v11
	v_add_f16_e32 v58, v61, v60
	v_pk_add_f16 v1, v62, v1
	v_add_f16_e32 v59, v55, v56
	v_sub_f16_e32 v60, v49, v55
	v_sub_f16_e32 v61, v54, v56
	v_add_f16_e32 v62, v49, v54
	v_sub_f16_e32 v49, v55, v49
	v_sub_f16_e32 v54, v56, v54
	v_fma_f16 v55, -0.5, v65, v12
	v_sub_f16_e32 v56, v66, v67
	v_sub_f16_e32 v65, v68, v69
	v_fma_f16 v12, -0.5, v72, v12
	v_pk_add_f16 v2, v75, v2
	v_add_f16_e32 v72, v68, v69
	v_add_f16_e32 v75, v66, v67
	v_sub_f16_e32 v6, v6, v10
	v_add_f16_e32 v70, v71, v70
	v_add_f16_e32 v71, v74, v73
	v_sub_f16_e32 v73, v66, v68
	v_sub_f16_e32 v74, v67, v69
	;; [unrolled: 1-line block ×4, first 2 shown]
	v_pk_add_f16 v1, v1, v3
	v_fma_f16 v3, -0.5, v59, v63
	v_add_f16_e32 v59, v60, v61
	v_fmac_f16_e32 v63, -0.5, v62
	v_add_f16_e32 v49, v49, v54
	v_fmamk_f16 v54, v56, 0x3b9c, v55
	v_fmamk_f16 v60, v65, 0xbb9c, v12
	v_fmac_f16_e32 v12, 0x3b9c, v65
	v_pk_add_f16 v2, v2, v4
	v_fma_f16 v61, -0.5, v72, v76
	v_fmac_f16_e32 v76, -0.5, v75
	v_sub_f16_e32 v5, v5, v9
	v_fmac_f16_e32 v55, 0xbb9c, v56
	v_add_f16_e32 v66, v66, v67
	v_fmamk_f16 v67, v64, 0x3b9c, v63
	v_fmac_f16_e32 v63, 0xbb9c, v64
	v_fmac_f16_e32 v54, 0x38b4, v65
	;; [unrolled: 1-line block ×4, first 2 shown]
	v_pk_add_f16 v2, v2, v10
	v_fmamk_f16 v10, v6, 0xbb9c, v61
	v_fmamk_f16 v56, v77, 0x3b9c, v76
	v_fmac_f16_e32 v76, 0xbb9c, v77
	v_fmac_f16_e32 v61, 0x3b9c, v6
	v_fmamk_f16 v68, v78, 0x3b9c, v48
	v_fmac_f16_e32 v48, 0xbb9c, v78
	v_add_f16_e32 v62, v73, v74
	v_pk_add_f16 v4, v1, v9
	v_fmac_f16_e32 v67, 0xb8b4, v5
	v_fmac_f16_e32 v63, 0x38b4, v5
	;; [unrolled: 1-line block ×9, first 2 shown]
	v_fmamk_f16 v69, v79, 0xbb9c, v11
	v_fmac_f16_e32 v11, 0x3b9c, v79
	v_fmac_f16_e32 v68, 0x38b4, v79
	;; [unrolled: 1-line block ×3, first 2 shown]
	v_fmamk_f16 v9, v5, 0xbb9c, v3
	v_fmac_f16_e32 v12, 0x34f2, v71
	v_pk_add_f16 v1, v4, v2
	v_pk_add_f16 v4, v4, v2 neg_lo:[0,1] neg_hi:[0,1]
	v_fmac_f16_e32 v67, 0x34f2, v49
	v_fmac_f16_e32 v63, 0x34f2, v49
	;; [unrolled: 1-line block ×5, first 2 shown]
	v_mul_f16_e32 v2, 0x3a79, v54
	v_mul_f16_e32 v49, 0xb8b4, v54
	v_fmac_f16_e32 v3, 0x3b9c, v5
	v_fmac_f16_e32 v55, 0x34f2, v70
	;; [unrolled: 1-line block ×3, first 2 shown]
	v_mul_f16_e32 v54, 0xbb9c, v60
	v_fmac_f16_e32 v69, 0x38b4, v78
	v_fmac_f16_e32 v11, 0xb8b4, v78
	;; [unrolled: 1-line block ×5, first 2 shown]
	v_mul_f16_e32 v5, 0x34f2, v12
	v_fmac_f16_e32 v2, 0x38b4, v10
	v_mul_f16_e32 v57, 0x3b9c, v56
	v_fmac_f16_e32 v49, 0x3a79, v10
	;; [unrolled: 2-line block ×5, first 2 shown]
	v_fmac_f16_e32 v11, 0x34f2, v58
	v_fmac_f16_e32 v9, 0x34f2, v59
	v_fma_f16 v5, v76, 0x3b9c, -v5
	v_fmac_f16_e32 v57, 0x34f2, v60
	v_fma_f16 v10, v12, 0xbb9c, -v10
	;; [unrolled: 2-line block ×3, first 2 shown]
	v_fma_f16 v12, v55, 0xb8b4, -v56
	v_add_f16_e32 v58, v68, v2
	v_add_f16_e32 v59, v11, v5
	;; [unrolled: 1-line block ×4, first 2 shown]
	v_sub_f16_e32 v11, v11, v5
	v_sub_f16_e32 v5, v9, v49
	v_add_f16_e32 v9, v69, v57
	v_add_f16_e32 v49, v63, v10
	;; [unrolled: 1-line block ×3, first 2 shown]
	v_sub_f16_e32 v55, v68, v2
	v_sub_f16_e32 v48, v48, v6
	;; [unrolled: 1-line block ×3, first 2 shown]
	v_add_f16_e32 v54, v3, v12
	v_sub_f16_e32 v56, v69, v57
	v_sub_f16_e32 v57, v63, v10
	;; [unrolled: 1-line block ×3, first 2 shown]
	v_pack_b32_f16 v2, v58, v61
	v_pack_b32_f16 v10, v59, v49
	;; [unrolled: 1-line block ×8, first 2 shown]
	s_barrier_wait -1
	global_inv scope:SCOPE_SE
	ds_store_2addr_b64 v47, v[1:2], v[9:10] offset1:1
	ds_store_2addr_b64 v47, v[3:4], v[5:6] offset0:2 offset1:3
	ds_store_b64 v47, v[11:12] offset:32
	global_wb scope:SCOPE_SE
	s_wait_dscnt 0x0
	s_barrier_signal -1
	s_barrier_wait -1
	global_inv scope:SCOPE_SE
	s_clause 0x4
	global_load_b32 v48, v13, s[10:11]
	global_load_b32 v49, v17, s[10:11]
	;; [unrolled: 1-line block ×5, first 2 shown]
	v_and_b32_e32 v1, 0xffff, v21
	v_and_b32_e32 v4, 0xffff, v22
	v_mad_u16 v9, v14, 20, v53
	v_mad_u16 v10, v19, 20, v7
	v_mul_u32_u24_e32 v13, 20, v0
	v_mul_u32_u24_e32 v14, 20, v1
	ds_load_2addr_b32 v[0:1], v30 offset1:22
	ds_load_2addr_b32 v[2:3], v30 offset0:88 offset1:110
	v_mul_u32_u24_e32 v17, 20, v4
	ds_load_2addr_b32 v[4:5], v30 offset0:132 offset1:154
	ds_load_2addr_b32 v[6:7], v30 offset0:44 offset1:66
	v_and_b32_e32 v19, 0xff, v9
	v_and_b32_e32 v20, 0xff, v10
	ds_load_2addr_b32 v[9:10], v30 offset0:176 offset1:198
	v_add_nc_u32_e32 v13, v13, v18
	v_add_nc_u32_e32 v14, v14, v15
	;; [unrolled: 1-line block ×3, first 2 shown]
	v_lshl_add_u32 v54, v20, 2, v45
	v_lshl_add_u32 v53, v19, 2, v45
	;; [unrolled: 1-line block ×5, first 2 shown]
	v_add_co_u32 v11, s0, s8, v46
	s_wait_alu 0xf1ff
	v_add_co_ci_u32_e64 v12, null, s9, 0, s0
	global_wb scope:SCOPE_SE
	s_wait_loadcnt_dscnt 0x0
	v_lshrrev_b32_e32 v15, 16, v0
	v_lshrrev_b32_e32 v13, 16, v3
	;; [unrolled: 1-line block ×10, first 2 shown]
	s_barrier_signal -1
	s_barrier_wait -1
	global_inv scope:SCOPE_SE
	v_lshrrev_b32_e32 v66, 16, v48
	v_lshrrev_b32_e32 v65, 16, v49
	;; [unrolled: 1-line block ×5, first 2 shown]
	v_mul_f16_e32 v22, v13, v66
	v_mul_f16_e32 v59, v3, v66
	;; [unrolled: 1-line block ×10, first 2 shown]
	v_fma_f16 v3, v3, v48, -v22
	v_fmac_f16_e32 v59, v13, v48
	v_fma_f16 v4, v4, v49, -v60
	v_fmac_f16_e32 v61, v14, v49
	;; [unrolled: 2-line block ×5, first 2 shown]
	v_sub_f16_e32 v14, v0, v3
	v_sub_f16_e32 v85, v15, v59
	;; [unrolled: 1-line block ×10, first 2 shown]
	v_fma_f16 v13, v0, 2.0, -v14
	v_fma_f16 v73, v15, 2.0, -v85
	;; [unrolled: 1-line block ×10, first 2 shown]
	v_pack_b32_f16 v0, v14, v85
	v_pack_b32_f16 v5, v13, v73
	;; [unrolled: 1-line block ×10, first 2 shown]
	ds_store_2addr_b32 v53, v5, v0 offset1:10
	ds_store_2addr_b32 v54, v6, v1 offset1:10
	;; [unrolled: 1-line block ×5, first 2 shown]
	global_wb scope:SCOPE_SE
	s_wait_dscnt 0x0
	s_barrier_signal -1
	s_barrier_wait -1
	global_inv scope:SCOPE_SE
	s_and_saveexec_b32 s0, vcc_lo
	s_cbranch_execz .LBB0_3
; %bb.2:
	ds_load_2addr_b32 v[13:14], v30 offset1:20
	ds_load_2addr_b32 v[15:16], v30 offset0:40 offset1:60
	ds_load_2addr_b32 v[17:18], v30 offset0:80 offset1:100
	;; [unrolled: 1-line block ×4, first 2 shown]
	ds_load_b32 v95, v30 offset:800
	s_wait_dscnt 0x5
	v_lshrrev_b32_e32 v73, 16, v13
	v_lshrrev_b32_e32 v85, 16, v14
	s_wait_dscnt 0x4
	v_lshrrev_b32_e32 v86, 16, v15
	v_lshrrev_b32_e32 v84, 16, v16
	;; [unrolled: 3-line block ×5, first 2 shown]
	s_wait_dscnt 0x0
	v_lshrrev_b32_e32 v96, 16, v95
.LBB0_3:
	s_wait_alu 0xfffe
	s_or_b32 exec_lo, exec_lo, s0
	v_subrev_nc_u32_e32 v0, 20, v35
	s_delay_alu instid0(VALU_DEP_1) | instskip(NEXT) | instid1(VALU_DEP_1)
	v_cndmask_b32_e32 v0, v0, v35, vcc_lo
	v_mul_i32_i24_e32 v1, 40, v0
	v_mul_hi_i32_i24_e32 v0, 40, v0
	s_delay_alu instid0(VALU_DEP_2) | instskip(SKIP_1) | instid1(VALU_DEP_2)
	v_add_co_u32 v9, s0, s10, v1
	s_wait_alu 0xf1ff
	v_add_co_ci_u32_e64 v10, s0, s11, v0, s0
	s_clause 0x2
	global_load_b128 v[4:7], v[9:10], off offset:40
	global_load_b128 v[0:3], v[9:10], off offset:56
	global_load_b64 v[9:10], v[9:10], off offset:72
	s_wait_loadcnt 0x2
	v_lshrrev_b32_e32 v71, 16, v4
	v_lshrrev_b32_e32 v69, 16, v5
	s_wait_loadcnt 0x0
	v_lshrrev_b32_e32 v72, 16, v10
	v_lshrrev_b32_e32 v67, 16, v6
	;; [unrolled: 1-line block ×3, first 2 shown]
	v_mul_f16_e32 v87, v85, v71
	v_mul_f16_e32 v83, v14, v71
	;; [unrolled: 1-line block ×4, first 2 shown]
	v_lshrrev_b32_e32 v58, 16, v0
	v_lshrrev_b32_e32 v59, 16, v1
	v_lshrrev_b32_e32 v68, 16, v3
	v_mul_f16_e32 v97, v86, v69
	v_mul_f16_e32 v82, v15, v69
	;; [unrolled: 1-line block ×5, first 2 shown]
	v_fma_f16 v88, v14, v4, -v87
	v_fmac_f16_e32 v83, v85, v4
	v_fma_f16 v14, v95, v10, -v105
	v_fmac_f16_e32 v75, v96, v10
	v_lshrrev_b32_e32 v60, 16, v7
	v_lshrrev_b32_e32 v61, 16, v2
	v_mul_f16_e32 v81, v16, v67
	v_mul_f16_e32 v100, v91, v58
	;; [unrolled: 1-line block ×5, first 2 shown]
	v_fma_f16 v87, v15, v5, -v97
	v_fmac_f16_e32 v82, v86, v5
	v_fma_f16 v86, v16, v6, -v98
	v_fma_f16 v16, v22, v9, -v104
	v_fmac_f16_e32 v74, v89, v9
	v_sub_f16_e32 v105, v88, v14
	v_sub_f16_e32 v108, v83, v75
	v_mul_f16_e32 v99, v94, v60
	v_mul_f16_e32 v80, v17, v60
	;; [unrolled: 1-line block ×5, first 2 shown]
	v_fmac_f16_e32 v81, v84, v6
	v_fma_f16 v84, v18, v0, -v100
	v_fma_f16 v18, v19, v1, -v101
	;; [unrolled: 1-line block ×3, first 2 shown]
	v_fmac_f16_e32 v76, v92, v3
	v_add_f16_e32 v103, v88, v14
	v_add_f16_e32 v114, v83, v75
	v_sub_f16_e32 v106, v87, v16
	v_sub_f16_e32 v109, v82, v74
	v_mul_f16_e32 v98, 0xb853, v108
	v_mul_f16_e32 v101, 0xb853, v105
	;; [unrolled: 1-line block ×3, first 2 shown]
	v_fma_f16 v85, v17, v7, -v99
	v_fmac_f16_e32 v80, v94, v7
	v_fma_f16 v17, v20, v2, -v102
	v_fmac_f16_e32 v77, v90, v2
	v_add_f16_e32 v20, v87, v16
	v_add_f16_e32 v116, v82, v74
	v_sub_f16_e32 v104, v86, v15
	v_sub_f16_e32 v110, v81, v76
	v_mul_f16_e32 v96, 0xbb47, v109
	v_mul_f16_e32 v99, 0xbb47, v106
	v_fmamk_f16 v21, v103, 0x3abb, v98
	v_fma_f16 v22, v114, 0x3abb, -v101
	v_fmac_f16_e32 v79, v91, v0
	v_fmac_f16_e32 v78, v93, v1
	v_add_f16_e32 v91, v86, v15
	v_add_f16_e32 v112, v81, v76
	v_sub_f16_e32 v102, v85, v17
	v_sub_f16_e32 v111, v80, v77
	v_mul_f16_e32 v92, 0xbbeb, v110
	v_mul_f16_e32 v95, 0xbbeb, v104
	v_fmamk_f16 v97, v20, 0x36a6, v96
	v_fma_f16 v117, v116, 0x36a6, -v99
	v_add_f16_e32 v21, v13, v21
	v_add_f16_e32 v22, v73, v22
	;; [unrolled: 1-line block ×4, first 2 shown]
	v_sub_f16_e32 v100, v84, v18
	v_sub_f16_e32 v107, v79, v78
	v_mul_f16_e32 v89, 0xba0c, v111
	v_mul_f16_e32 v93, 0xba0c, v102
	v_fmamk_f16 v118, v91, 0xb08e, v92
	v_fma_f16 v119, v112, 0xb08e, -v95
	v_add_f16_e32 v21, v97, v21
	v_add_f16_e32 v22, v117, v22
	;; [unrolled: 1-line block ×4, first 2 shown]
	v_mul_f16_e32 v90, 0xb482, v107
	v_mul_f16_e32 v97, 0xb482, v100
	v_fmamk_f16 v117, v94, 0xb93d, v89
	v_fma_f16 v120, v113, 0xb93d, -v93
	v_add_f16_e32 v21, v118, v21
	v_add_f16_e32 v22, v119, v22
	v_fmamk_f16 v118, v19, 0xbbad, v90
	v_fma_f16 v119, v115, 0xbbad, -v97
	s_delay_alu instid0(VALU_DEP_4) | instskip(NEXT) | instid1(VALU_DEP_4)
	v_add_f16_e32 v21, v117, v21
	v_add_f16_e32 v22, v120, v22
	s_delay_alu instid0(VALU_DEP_2) | instskip(NEXT) | instid1(VALU_DEP_2)
	v_add_f16_e32 v21, v118, v21
	v_add_f16_e32 v22, v119, v22
	s_and_saveexec_b32 s0, vcc_lo
	s_cbranch_execz .LBB0_5
; %bb.4:
	v_mul_f16_e32 v120, 0x36a6, v114
	v_mul_f16_e32 v126, 0xb93d, v116
	v_mul_f16_e64 v129, 0xbb47, v108
	v_mul_f16_e64 v131, 0xbbad, v112
	;; [unrolled: 1-line block ×3, first 2 shown]
	v_fmamk_f16 v125, v105, 0x3b47, v120
	v_fma_f16 v130, 0x3a0c, v106, v126
	v_fma_f16 v133, 0x36a6, v103, v129
	v_mul_f16_e64 v135, 0xb08e, v113
	v_fma_f16 v136, 0xb93d, v20, v134
	v_add_f16_e32 v125, v73, v125
	v_mul_f16_e64 v137, 0x3482, v110
	v_add_f16_e64 v133, v13, v133
	v_mul_f16_e64 v138, 0x3abb, v115
	v_mul_f16_e64 v139, 0x3beb, v111
	v_add_f16_e64 v125, v130, v125
	v_fma_f16 v130, 0xb482, v104, v131
	v_add_f16_e64 v133, v136, v133
	v_fma_f16 v136, 0xbbad, v91, v137
	v_mul_f16_e64 v140, 0xb08e, v114
	v_mul_f16_e64 v141, 0x3853, v107
	v_add_f16_e64 v125, v130, v125
	v_fma_f16 v130, 0xbbeb, v102, v135
	v_add_f16_e64 v133, v136, v133
	v_fma_f16 v136, 0xb08e, v94, v139
	;; [unrolled: 6-line block ×3, first 2 shown]
	v_fma_f16 v144, 0xb482, v106, v142
	v_mul_f16_e64 v145, 0x36a6, v112
	v_add_f16_e64 v125, v130, v125
	v_fma_f16 v130, 0x3beb, v105, v140
	v_add_f16_e64 v133, v136, v133
	v_fma_f16 v136, 0xb08e, v103, v143
	v_mul_f16_e64 v146, 0x3482, v109
	v_mul_f16_e64 v147, 0x3abb, v113
	v_add_f16_e64 v130, v73, v130
	v_mul_f16_e64 v149, 0x3b47, v110
	v_add_f16_e64 v136, v13, v136
	v_fma_f16 v148, 0xbbad, v20, v146
	v_mul_f16_e64 v150, 0xb93d, v115
	v_add_f16_e64 v130, v144, v130
	v_fma_f16 v144, 0xbb47, v104, v145
	;; [unrolled: 3-line block ×7, first 2 shown]
	v_fma_f16 v156, 0xbbeb, v106, v154
	v_add_f16_e64 v130, v144, v130
	v_fma_f16 v144, 0x3a0c, v105, v152
	v_mul_f16_e64 v157, 0x3abb, v112
	v_add_f16_e64 v136, v148, v136
	v_fma_f16 v148, 0xb93d, v103, v155
	v_mul_f16_e64 v158, 0x3beb, v109
	v_add_f16_e64 v144, v73, v144
	v_mul_f16_e64 v159, 0xbbad, v113
	v_mul_f16_e64 v161, 0xb853, v110
	v_add_f16_e64 v148, v13, v148
	v_fma_f16 v160, 0xb08e, v20, v158
	v_add_f16_e64 v144, v156, v144
	v_fma_f16 v156, 0x3853, v104, v157
	v_mul_f16_e64 v162, 0x36a6, v115
	v_mul_f16_e64 v163, 0xb482, v111
	v_add_f16_e64 v148, v160, v148
	v_fma_f16 v160, 0x3abb, v91, v161
	v_add_f16_e64 v144, v156, v144
	v_fma_f16 v156, 0x3482, v102, v159
	v_mul_f16_e32 v118, 0x3abb, v114
	v_mul_f16_e32 v114, 0xbbad, v114
	v_add_f16_e64 v148, v160, v148
	v_fma_f16 v160, 0xbbad, v94, v163
	v_add_f16_e64 v144, v156, v144
	v_fma_f16 v156, 0xbb47, v100, v162
	v_mul_f16_e64 v164, 0x3b47, v107
	v_mul_f16_e32 v121, 0x36a6, v116
	v_mul_f16_e32 v116, 0x3abb, v116
	v_add_f16_e64 v148, v160, v148
	v_add_f16_e64 v144, v156, v144
	v_fma_f16 v156, 0x3482, v105, v114
	v_fma_f16 v160, 0x36a6, v19, v164
	v_mul_f16_e32 v108, 0xb482, v108
	v_fmac_f16_e32 v114, 0xb482, v105
	v_mul_f16_e32 v123, 0xb08e, v112
	v_add_f16_e64 v156, v73, v156
	v_fma_f16 v165, 0xb853, v106, v116
	v_mul_f16_e32 v112, 0xb93d, v112
	v_add_f16_e64 v148, v160, v148
	v_fma_f16 v160, 0xbbad, v103, v108
	v_mul_f16_e32 v109, 0x3853, v109
	v_add_f16_e32 v114, v73, v114
	v_fmac_f16_e32 v116, 0x3853, v106
	v_fma_f16 v108, v103, 0xbbad, -v108
	v_mul_f16_e32 v127, 0xb93d, v113
	v_add_f16_e64 v156, v165, v156
	v_fma_f16 v165, 0x3a0c, v104, v112
	v_mul_f16_e32 v113, 0x36a6, v113
	v_add_f16_e64 v160, v13, v160
	v_fma_f16 v166, 0x3abb, v20, v109
	v_mul_f16_e32 v110, 0xba0c, v110
	v_add_f16_e32 v114, v116, v114
	v_fmac_f16_e32 v112, 0xba0c, v104
	v_add_f16_e32 v108, v13, v108
	v_fma_f16 v109, v20, 0x3abb, -v109
	v_fmac_f16_e64 v152, 0xba0c, v105
	v_mul_f16_e64 v132, 0xbbad, v115
	v_add_f16_e64 v156, v165, v156
	v_fma_f16 v165, 0xbb47, v102, v113
	v_mul_f16_e32 v115, 0xb08e, v115
	v_add_f16_e64 v160, v166, v160
	v_fma_f16 v166, 0xb93d, v91, v110
	v_mul_f16_e32 v111, 0x3b47, v111
	v_add_f16_e32 v112, v112, v114
	v_fmac_f16_e32 v113, 0x3b47, v102
	v_add_f16_e32 v108, v109, v108
	v_fma_f16 v109, v91, 0xb93d, -v110
	v_add_f16_e64 v110, v73, v152
	v_fmac_f16_e64 v154, 0x3beb, v106
	v_mul_f16_e32 v117, 0x3abb, v103
	v_add_f16_e64 v156, v165, v156
	v_fma_f16 v165, 0x3beb, v100, v115
	v_add_f16_e64 v160, v166, v160
	v_fma_f16 v166, 0x36a6, v94, v111
	v_add_f16_e32 v112, v113, v112
	v_add_f16_e32 v108, v109, v108
	v_fma_f16 v109, v94, 0x36a6, -v111
	v_add_f16_e64 v110, v154, v110
	v_fmac_f16_e64 v157, 0xb853, v104
	v_fmac_f16_e32 v115, 0xbbeb, v100
	v_fma_f16 v111, v103, 0xb93d, -v155
	v_fma_f16 v113, v103, 0xb08e, -v143
	;; [unrolled: 1-line block ×3, first 2 shown]
	v_add_f16_e32 v88, v13, v88
	v_add_f16_e32 v83, v73, v83
	v_mul_f16_e32 v119, 0x36a6, v20
	v_mul_f16_e32 v107, 0xbbeb, v107
	v_add_f16_e32 v108, v109, v108
	v_add_f16_e64 v109, v157, v110
	v_add_f16_e32 v110, v13, v111
	v_fma_f16 v111, v20, 0xb08e, -v158
	v_add_f16_e32 v112, v115, v112
	v_fma_f16 v115, v20, 0xbbad, -v146
	;; [unrolled: 2-line block ×3, first 2 shown]
	v_add_f16_e32 v87, v88, v87
	v_add_f16_e32 v82, v83, v82
	v_fmamk_f16 v116, v19, 0xb08e, v107
	v_fma_f16 v107, v19, 0xb08e, -v107
	v_fmac_f16_e64 v159, 0xb482, v102
	v_fmac_f16_e64 v140, 0xbbeb, v105
	v_add_f16_e32 v20, v20, v103
	v_fma_f16 v83, v91, 0xbbad, -v137
	v_add_f16_e32 v86, v87, v86
	v_add_f16_e32 v81, v82, v81
	;; [unrolled: 1-line block ×3, first 2 shown]
	v_add_f16_e64 v108, v159, v109
	v_add_f16_e32 v109, v111, v110
	v_fma_f16 v110, v91, 0x3abb, -v161
	v_add_f16_e64 v111, v73, v140
	v_fmac_f16_e64 v142, 0x3482, v106
	v_add_f16_e32 v20, v83, v20
	v_fma_f16 v83, v94, 0xb08e, -v139
	v_add_f16_e32 v85, v86, v85
	v_add_f16_e32 v80, v81, v80
	;; [unrolled: 1-line block ×3, first 2 shown]
	v_fma_f16 v110, v94, 0xbbad, -v163
	v_add_f16_e64 v111, v142, v111
	v_fmac_f16_e64 v145, 0x3b47, v104
	v_add_f16_e32 v113, v13, v113
	v_add_f16_e32 v20, v83, v20
	;; [unrolled: 1-line block ×5, first 2 shown]
	v_add_f16_e64 v110, v145, v111
	v_fmac_f16_e64 v147, 0xb853, v102
	v_add_f16_e32 v111, v115, v113
	v_fma_f16 v113, v91, 0x36a6, -v149
	v_fmac_f16_e32 v120, 0xbb47, v105
	v_add_f16_e32 v81, v101, v118
	v_sub_f16_e32 v80, v117, v98
	v_add_f16_e32 v18, v83, v18
	v_add_f16_e32 v78, v79, v78
	v_mul_f16_e32 v122, 0xb08e, v91
	v_fma_f16 v115, v19, 0x36a6, -v164
	v_add_f16_e64 v105, v147, v110
	v_add_f16_e32 v110, v113, v111
	v_fma_f16 v111, v94, 0x3abb, -v151
	v_add_f16_e32 v113, v73, v120
	v_fmac_f16_e32 v126, 0xba0c, v106
	v_add_f16_e32 v73, v73, v81
	v_add_f16_e32 v81, v99, v121
	;; [unrolled: 1-line block ×3, first 2 shown]
	v_sub_f16_e32 v79, v119, v96
	v_add_f16_e32 v17, v18, v17
	v_add_f16_e32 v18, v78, v77
	v_mul_f16_e32 v124, 0xb93d, v94
	v_add_f16_e32 v106, v115, v109
	v_add_f16_e32 v109, v111, v110
	;; [unrolled: 1-line block ×3, first 2 shown]
	v_fmac_f16_e64 v131, 0x3482, v104
	v_add_f16_e32 v73, v81, v73
	v_add_f16_e32 v77, v95, v123
	;; [unrolled: 1-line block ×3, first 2 shown]
	v_sub_f16_e32 v78, v122, v92
	v_add_f16_e32 v15, v17, v15
	v_add_f16_e32 v17, v18, v76
	v_mul_f16_e64 v128, 0xbbad, v19
	v_add_f16_e64 v104, v131, v110
	v_fmac_f16_e64 v135, 0x3beb, v102
	v_add_f16_e32 v18, v77, v73
	v_add_f16_e32 v73, v93, v127
	;; [unrolled: 1-line block ×5, first 2 shown]
	v_sub_f16_e32 v17, v124, v89
	v_add_f16_e64 v82, v135, v104
	v_fmac_f16_e64 v138, 0x3853, v100
	v_add_f16_e32 v18, v73, v18
	v_add_f16_e64 v73, v97, v132
	v_add_f16_e32 v14, v15, v14
	v_add_f16_e32 v15, v16, v75
	;; [unrolled: 1-line block ×3, first 2 shown]
	v_sub_f16_e64 v16, v128, v90
	v_fma_f16 v17, v19, 0x3abb, -v141
	v_fmac_f16_e64 v162, 0x3b47, v100
	v_fmac_f16_e64 v150, 0xba0c, v100
	v_fma_f16 v88, v19, 0xb93d, -v153
	v_add_f16_e64 v160, v166, v160
	v_add_f16_e64 v19, v138, v82
	v_pack_b32_f16 v14, v14, v15
	v_add_f16_e32 v15, v73, v18
	v_add_f16_e32 v13, v16, v13
	;; [unrolled: 1-line block ×3, first 2 shown]
	v_add_f16_e64 v108, v162, v108
	v_add_f16_e64 v105, v150, v105
	v_add_f16_e32 v17, v88, v109
	v_add_f16_e64 v156, v165, v156
	v_add_f16_e64 v114, v116, v160
	ds_store_b32 v30, v14
	v_lshl_add_u32 v14, v35, 2, v45
	v_pack_b32_f16 v13, v13, v15
	v_pack_b32_f16 v15, v16, v19
	;; [unrolled: 1-line block ×9, first 2 shown]
	v_perm_b32 v75, v22, v21, 0x5040100
	ds_store_2addr_b32 v14, v13, v15 offset0:20 offset1:40
	ds_store_2addr_b32 v14, v16, v17 offset0:60 offset1:80
	ds_store_2addr_b32 v14, v18, v19 offset0:100 offset1:120
	ds_store_2addr_b32 v14, v20, v73 offset0:140 offset1:160
	ds_store_2addr_b32 v14, v74, v75 offset0:180 offset1:200
.LBB0_5:
	s_wait_alu 0xfffe
	s_or_b32 exec_lo, exec_lo, s0
	s_add_nc_u64 s[0:1], s[8:9], 0x370
	global_wb scope:SCOPE_SE
	s_wait_dscnt 0x0
	s_barrier_signal -1
	s_barrier_wait -1
	global_inv scope:SCOPE_SE
	s_clause 0x9
	global_load_b32 v73, v[11:12], off offset:880
	global_load_b32 v74, v46, s[0:1] offset:88
	global_load_b32 v75, v46, s[0:1] offset:176
	;; [unrolled: 1-line block ×9, first 2 shown]
	ds_load_2addr_b32 v[11:12], v30 offset1:22
	ds_load_2addr_b32 v[13:14], v30 offset0:44 offset1:66
	ds_load_2addr_b32 v[15:16], v30 offset0:88 offset1:110
	ds_load_2addr_b32 v[17:18], v30 offset0:132 offset1:154
	ds_load_2addr_b32 v[19:20], v30 offset0:176 offset1:198
	s_wait_dscnt 0x4
	v_lshrrev_b32_e32 v82, 16, v11
	v_lshrrev_b32_e32 v83, 16, v12
	s_wait_dscnt 0x3
	v_lshrrev_b32_e32 v84, 16, v13
	v_lshrrev_b32_e32 v85, 16, v14
	;; [unrolled: 3-line block ×5, first 2 shown]
	s_wait_loadcnt 0x9
	v_lshrrev_b32_e32 v92, 16, v73
	s_wait_loadcnt 0x8
	v_lshrrev_b32_e32 v93, 16, v74
	;; [unrolled: 2-line block ×10, first 2 shown]
	v_mul_f16_e32 v102, v82, v92
	v_mul_f16_e32 v92, v11, v92
	;; [unrolled: 1-line block ×20, first 2 shown]
	v_fma_f16 v11, v11, v73, -v102
	v_fmac_f16_e32 v92, v82, v73
	v_fma_f16 v12, v12, v74, -v103
	v_fmac_f16_e32 v93, v83, v74
	;; [unrolled: 2-line block ×10, first 2 shown]
	v_pack_b32_f16 v11, v11, v92
	v_pack_b32_f16 v12, v12, v93
	;; [unrolled: 1-line block ×10, first 2 shown]
	ds_store_2addr_b32 v30, v11, v12 offset1:22
	ds_store_2addr_b32 v30, v13, v14 offset0:44 offset1:66
	ds_store_2addr_b32 v30, v15, v16 offset0:88 offset1:110
	;; [unrolled: 1-line block ×4, first 2 shown]
	global_wb scope:SCOPE_SE
	s_wait_dscnt 0x0
	s_barrier_signal -1
	s_barrier_wait -1
	global_inv scope:SCOPE_SE
	ds_load_2addr_b32 v[11:12], v30 offset0:88 offset1:110
	ds_load_2addr_b32 v[13:14], v30 offset0:132 offset1:154
	;; [unrolled: 1-line block ×4, first 2 shown]
	ds_load_2addr_b32 v[19:20], v30 offset1:22
	global_wb scope:SCOPE_SE
	s_wait_dscnt 0x0
	s_barrier_signal -1
	s_barrier_wait -1
	global_inv scope:SCOPE_SE
	v_lshrrev_b32_e32 v75, 16, v11
	v_add_f16_e32 v46, v11, v13
	v_lshrrev_b32_e32 v73, 16, v15
	v_lshrrev_b32_e32 v74, 16, v17
	;; [unrolled: 1-line block ×3, first 2 shown]
	v_sub_f16_e32 v77, v17, v13
	v_sub_f16_e32 v78, v15, v11
	v_add_f16_e32 v79, v15, v17
	v_sub_f16_e32 v80, v13, v17
	v_sub_f16_e32 v81, v11, v15
	v_pk_add_f16 v82, v19, v15
	v_add_f16_e32 v85, v12, v14
	v_lshrrev_b32_e32 v86, 16, v16
	v_lshrrev_b32_e32 v87, 16, v18
	v_lshrrev_b32_e32 v88, 16, v12
	v_lshrrev_b32_e32 v89, 16, v14
	v_add_f16_e32 v92, v16, v18
	v_pk_add_f16 v95, v20, v16
	v_lshrrev_b32_e32 v83, 16, v19
	v_sub_f16_e32 v84, v11, v13
	v_sub_f16_e32 v91, v16, v12
	;; [unrolled: 1-line block ×3, first 2 shown]
	v_lshrrev_b32_e32 v96, 16, v20
	v_sub_f16_e32 v97, v12, v14
	v_fma_f16 v46, -0.5, v46, v19
	v_sub_f16_e32 v98, v73, v74
	v_sub_f16_e32 v99, v75, v76
	v_add_f16_e32 v77, v78, v77
	v_fma_f16 v19, -0.5, v79, v19
	v_add_f16_e32 v78, v81, v80
	v_pk_add_f16 v11, v82, v11
	v_add_f16_e32 v79, v75, v76
	v_sub_f16_e32 v80, v73, v75
	v_sub_f16_e32 v81, v74, v76
	v_add_f16_e32 v82, v73, v74
	v_sub_f16_e32 v73, v75, v73
	v_sub_f16_e32 v74, v76, v74
	v_fma_f16 v75, -0.5, v85, v20
	v_sub_f16_e32 v76, v86, v87
	v_sub_f16_e32 v85, v88, v89
	v_fma_f16 v20, -0.5, v92, v20
	v_pk_add_f16 v12, v95, v12
	v_add_f16_e32 v92, v88, v89
	v_add_f16_e32 v95, v86, v87
	v_sub_f16_e32 v90, v18, v14
	v_sub_f16_e32 v93, v14, v18
	;; [unrolled: 1-line block ×3, first 2 shown]
	v_pk_add_f16 v11, v11, v13
	v_fma_f16 v13, -0.5, v79, v83
	v_add_f16_e32 v79, v80, v81
	v_add_f16_e32 v73, v73, v74
	v_fmamk_f16 v74, v76, 0xbb9c, v75
	v_fmamk_f16 v80, v85, 0x3b9c, v20
	v_fmac_f16_e32 v20, 0xbb9c, v85
	v_pk_add_f16 v12, v12, v14
	v_fma_f16 v81, -0.5, v92, v96
	v_fmac_f16_e32 v96, -0.5, v95
	v_add_f16_e32 v90, v91, v90
	v_add_f16_e32 v91, v94, v93
	v_sub_f16_e32 v93, v86, v88
	v_sub_f16_e32 v94, v87, v89
	;; [unrolled: 1-line block ×4, first 2 shown]
	v_fmac_f16_e32 v83, -0.5, v82
	v_fmac_f16_e32 v75, 0x3b9c, v76
	v_fmac_f16_e32 v74, 0xb8b4, v85
	;; [unrolled: 1-line block ×4, first 2 shown]
	v_pk_add_f16 v12, v12, v18
	v_fmamk_f16 v18, v16, 0x3b9c, v81
	v_fmamk_f16 v76, v97, 0xbb9c, v96
	v_fmac_f16_e32 v96, 0x3b9c, v97
	v_fmac_f16_e32 v81, 0xbb9c, v16
	v_sub_f16_e32 v15, v15, v17
	v_add_f16_e32 v82, v93, v94
	v_add_f16_e32 v86, v86, v87
	v_pk_add_f16 v14, v11, v17
	v_fmamk_f16 v87, v84, 0xbb9c, v83
	v_fmac_f16_e32 v83, 0x3b9c, v84
	v_fmac_f16_e32 v74, 0x34f2, v90
	;; [unrolled: 1-line block ×5, first 2 shown]
	v_fmamk_f16 v88, v98, 0xbb9c, v46
	v_fmac_f16_e32 v46, 0x3b9c, v98
	v_fmamk_f16 v89, v99, 0x3b9c, v19
	v_fmac_f16_e32 v19, 0xbb9c, v99
	v_fmac_f16_e32 v81, 0xb8b4, v97
	v_fmamk_f16 v17, v15, 0x3b9c, v13
	v_fmac_f16_e32 v87, 0x38b4, v15
	v_fmac_f16_e32 v83, 0xb8b4, v15
	v_pk_add_f16 v11, v14, v12
	v_pk_add_f16 v14, v14, v12 neg_lo:[0,1] neg_hi:[0,1]
	v_fmac_f16_e32 v18, 0x34f2, v82
	v_fmac_f16_e32 v76, 0x34f2, v86
	;; [unrolled: 1-line block ×3, first 2 shown]
	v_mul_f16_e32 v12, 0x38b4, v74
	v_fmac_f16_e32 v88, 0xb8b4, v99
	v_fmac_f16_e32 v46, 0x38b4, v99
	;; [unrolled: 1-line block ×12, first 2 shown]
	v_mul_f16_e32 v15, 0xb8b4, v18
	v_mul_f16_e32 v16, 0xbb9c, v76
	;; [unrolled: 1-line block ×3, first 2 shown]
	v_fmac_f16_e32 v12, 0x3a79, v18
	v_mul_f16_e32 v18, 0x34f2, v76
	v_mul_f16_e32 v76, 0xb4f2, v96
	v_fmac_f16_e32 v88, 0x34f2, v77
	v_fmac_f16_e32 v46, 0x34f2, v77
	;; [unrolled: 1-line block ×6, first 2 shown]
	v_mul_f16_e32 v77, 0xb8b4, v81
	v_mul_f16_e32 v78, 0xba79, v81
	v_fmac_f16_e32 v17, 0x34f2, v79
	v_fmac_f16_e32 v15, 0x3a79, v74
	;; [unrolled: 1-line block ×9, first 2 shown]
	v_add_f16_e32 v74, v17, v12
	v_sub_f16_e32 v17, v17, v12
	v_add_f16_e32 v12, v88, v15
	v_add_f16_e32 v20, v89, v16
	;; [unrolled: 1-line block ×7, first 2 shown]
	v_sub_f16_e32 v84, v88, v15
	v_sub_f16_e32 v85, v89, v16
	;; [unrolled: 1-line block ×7, first 2 shown]
	v_pack_b32_f16 v16, v75, v81
	v_pack_b32_f16 v15, v20, v80
	v_pack_b32_f16 v12, v12, v74
	v_pack_b32_f16 v18, v85, v18
	v_pack_b32_f16 v17, v84, v17
	v_pack_b32_f16 v13, v79, v82
	v_pack_b32_f16 v20, v46, v76
	v_pack_b32_f16 v19, v19, v73
	ds_store_2addr_b64 v47, v[11:12], v[15:16] offset1:1
	ds_store_2addr_b64 v47, v[13:14], v[17:18] offset0:2 offset1:3
	ds_store_b64 v47, v[19:20] offset:32
	global_wb scope:SCOPE_SE
	s_wait_dscnt 0x0
	s_barrier_signal -1
	s_barrier_wait -1
	global_inv scope:SCOPE_SE
	ds_load_2addr_b32 v[73:74], v30 offset1:22
	ds_load_2addr_b32 v[19:20], v30 offset0:88 offset1:110
	ds_load_2addr_b32 v[11:12], v30 offset0:132 offset1:154
	;; [unrolled: 1-line block ×4, first 2 shown]
	global_wb scope:SCOPE_SE
	s_wait_dscnt 0x0
	s_barrier_signal -1
	s_barrier_wait -1
	global_inv scope:SCOPE_SE
	v_lshrrev_b32_e32 v15, 16, v73
	v_lshrrev_b32_e32 v16, 16, v20
	;; [unrolled: 1-line block ×3, first 2 shown]
	v_mul_f16_e32 v81, v66, v20
	v_lshrrev_b32_e32 v46, 16, v12
	v_mul_f16_e32 v82, v65, v11
	v_lshrrev_b32_e32 v78, 16, v13
	v_mul_f16_e32 v83, v64, v12
	v_lshrrev_b32_e32 v80, 16, v14
	v_mul_f16_e32 v66, v66, v16
	v_fma_f16 v16, v48, v16, -v81
	v_mul_f16_e32 v81, v65, v18
	v_fma_f16 v18, v49, v18, -v82
	v_mul_f16_e32 v82, v64, v46
	v_mul_f16_e32 v84, v63, v13
	v_fma_f16 v46, v50, v46, -v83
	v_mul_f16_e32 v83, v63, v78
	v_mul_f16_e32 v85, v62, v14
	;; [unrolled: 1-line block ×3, first 2 shown]
	v_fmac_f16_e32 v66, v48, v20
	v_lshrrev_b32_e32 v17, 16, v74
	v_fmac_f16_e32 v81, v49, v11
	v_lshrrev_b32_e32 v47, 16, v75
	;; [unrolled: 2-line block ×3, first 2 shown]
	v_fma_f16 v63, v51, v78, -v84
	v_fmac_f16_e32 v83, v51, v13
	v_lshrrev_b32_e32 v79, 16, v19
	v_fma_f16 v64, v52, v80, -v85
	v_fmac_f16_e32 v62, v52, v14
	v_sub_f16_e32 v65, v15, v16
	v_sub_f16_e32 v12, v73, v66
	;; [unrolled: 1-line block ×10, first 2 shown]
	v_fma_f16 v46, v15, 2.0, -v65
	v_fma_f16 v11, v73, 2.0, -v12
	;; [unrolled: 1-line block ×10, first 2 shown]
	v_pack_b32_f16 v47, v12, v65
	v_pack_b32_f16 v76, v11, v46
	;; [unrolled: 1-line block ×10, first 2 shown]
	ds_store_2addr_b32 v53, v76, v47 offset1:10
	ds_store_2addr_b32 v54, v77, v66 offset1:10
	;; [unrolled: 1-line block ×5, first 2 shown]
	global_wb scope:SCOPE_SE
	s_wait_dscnt 0x0
	s_barrier_signal -1
	s_barrier_wait -1
	global_inv scope:SCOPE_SE
	s_and_saveexec_b32 s0, vcc_lo
	s_cbranch_execz .LBB0_7
; %bb.6:
	ds_load_2addr_b32 v[11:12], v30 offset1:20
	ds_load_2addr_b32 v[17:18], v30 offset0:40 offset1:60
	ds_load_2addr_b32 v[13:14], v30 offset0:80 offset1:100
	;; [unrolled: 1-line block ×4, first 2 shown]
	ds_load_b32 v21, v30 offset:800
	s_wait_dscnt 0x5
	v_lshrrev_b32_e32 v46, 16, v11
	v_lshrrev_b32_e32 v65, 16, v12
	s_wait_dscnt 0x4
	v_lshrrev_b32_e32 v63, 16, v17
	v_lshrrev_b32_e32 v52, 16, v18
	;; [unrolled: 3-line block ×5, first 2 shown]
	s_wait_dscnt 0x0
	v_lshrrev_b32_e32 v22, 16, v21
.LBB0_7:
	s_wait_alu 0xfffe
	s_or_b32 exec_lo, exec_lo, s0
	s_and_saveexec_b32 s0, vcc_lo
	s_cbranch_execz .LBB0_9
; %bb.8:
	v_mul_f16_e32 v53, v71, v65
	v_mul_f16_e32 v47, v72, v22
	v_mul_f16_e32 v54, v72, v21
	v_mul_f16_e32 v55, v71, v12
	v_mul_f16_e32 v56, v69, v63
	v_fmac_f16_e32 v53, v4, v12
	v_mul_f16_e32 v12, v70, v64
	v_fmac_f16_e32 v47, v10, v21
	v_fma_f16 v10, v10, v22, -v54
	v_fma_f16 v22, v4, v65, -v55
	v_mul_f16_e32 v4, v70, v20
	v_fmac_f16_e32 v12, v9, v20
	v_mul_f16_e32 v20, v69, v17
	v_sub_f16_e32 v21, v53, v47
	v_fmac_f16_e32 v56, v5, v17
	v_fma_f16 v4, v9, v64, -v4
	v_mul_f16_e32 v64, v67, v52
	v_fma_f16 v9, v5, v63, -v20
	v_mul_f16_e32 v5, v68, v62
	v_mul_f16_e32 v66, v60, v51
	;; [unrolled: 1-line block ×3, first 2 shown]
	v_add_f16_e32 v55, v10, v22
	v_sub_f16_e32 v17, v56, v12
	v_fmac_f16_e32 v64, v6, v18
	v_fmac_f16_e32 v5, v3, v19
	v_mul_f16_e32 v19, v68, v19
	v_mul_f16_e32 v18, v67, v18
	;; [unrolled: 1-line block ×3, first 2 shown]
	v_fmac_f16_e32 v66, v7, v13
	v_mul_f16_e32 v13, v60, v13
	v_fmamk_f16 v20, v55, 0x36a6, v54
	v_mul_f16_e32 v57, 0xba0c, v17
	v_add_f16_e32 v63, v4, v9
	v_sub_f16_e32 v68, v64, v5
	v_fma_f16 v3, v3, v62, -v19
	v_fma_f16 v6, v6, v52, -v18
	v_fmac_f16_e32 v67, v2, v16
	v_mul_f16_e32 v16, v61, v16
	v_fma_f16 v7, v7, v51, -v13
	v_mul_f16_e32 v51, v58, v48
	v_mul_f16_e32 v60, v59, v49
	v_add_f16_e32 v20, v46, v20
	v_fmamk_f16 v65, v63, 0xb93d, v57
	v_mul_f16_e32 v18, 0x3482, v68
	v_add_f16_e32 v19, v3, v6
	v_sub_f16_e32 v52, v66, v67
	v_fma_f16 v2, v2, v50, -v16
	v_fmac_f16_e32 v51, v0, v14
	v_fmac_f16_e32 v60, v1, v15
	v_mul_f16_e32 v15, v59, v15
	v_mul_f16_e32 v14, v58, v14
	v_add_f16_e32 v13, v65, v20
	v_fmamk_f16 v16, v19, 0xbbad, v18
	v_mul_f16_e32 v20, 0x3beb, v52
	v_add_f16_e32 v50, v2, v7
	v_sub_f16_e32 v61, v51, v60
	v_fma_f16 v1, v1, v49, -v15
	v_fma_f16 v0, v0, v48, -v14
	v_add_f16_e32 v13, v16, v13
	v_fmamk_f16 v16, v50, 0xb08e, v20
	v_mul_f16_e32 v49, 0x3853, v61
	v_add_f16_e32 v58, v47, v53
	v_add_f16_e32 v69, v1, v0
	v_sub_f16_e32 v62, v9, v4
	v_add_f16_e32 v13, v16, v13
	v_sub_f16_e32 v16, v22, v10
	v_add_f16_e32 v15, v12, v56
	v_fmamk_f16 v73, v69, 0x3abb, v49
	v_mul_f16_e32 v48, 0xba0c, v62
	v_sub_f16_e32 v65, v6, v3
	v_mul_f16_e32 v59, 0xbb47, v16
	v_mul_f16_e32 v78, 0x3482, v17
	v_add_f16_e32 v13, v73, v13
	v_mul_f16_e32 v73, 0xbbeb, v21
	v_fma_f16 v70, v15, 0xb93d, -v48
	v_fma_f16 v14, v58, 0x36a6, -v59
	v_add_f16_e32 v71, v5, v64
	v_mul_f16_e32 v72, 0x3482, v65
	v_fmamk_f16 v77, v55, 0xb08e, v73
	v_fmamk_f16 v82, v63, 0xbbad, v78
	v_add_f16_e32 v14, v11, v14
	v_mul_f16_e32 v83, 0x3b47, v68
	v_fma_f16 v74, v71, 0xbbad, -v72
	v_add_f16_e32 v77, v46, v77
	v_mul_f16_e32 v85, 0xb853, v52
	v_add_f16_e32 v14, v70, v14
	v_sub_f16_e32 v70, v7, v2
	v_add_f16_e32 v75, v67, v66
	v_add_f16_e32 v77, v82, v77
	v_fmamk_f16 v82, v19, 0x36a6, v83
	v_add_f16_e32 v14, v74, v14
	v_mul_f16_e32 v76, 0x3beb, v70
	v_sub_f16_e32 v74, v0, v1
	v_mul_f16_e32 v87, 0xba0c, v61
	v_add_f16_e32 v77, v82, v77
	v_fmamk_f16 v82, v50, 0x3abb, v85
	v_fma_f16 v79, v75, 0xb08e, -v76
	v_add_f16_e32 v80, v60, v51
	v_mul_f16_e32 v81, 0x3853, v74
	v_mul_f16_e32 v90, 0xba0c, v21
	v_add_f16_e32 v77, v82, v77
	v_fmamk_f16 v82, v69, 0xb93d, v87
	v_add_f16_e32 v14, v79, v14
	v_fma_f16 v79, v80, 0x3abb, -v81
	v_mul_f16_e32 v84, 0xbbeb, v16
	v_mul_f16_e32 v92, 0x3beb, v17
	v_add_f16_e32 v77, v82, v77
	v_fmamk_f16 v82, v55, 0xb93d, v90
	v_add_f16_e32 v14, v79, v14
	v_fma_f16 v79, v58, 0xb08e, -v84
	v_mul_f16_e32 v86, 0x3482, v62
	v_fmamk_f16 v94, v63, 0xb08e, v92
	v_add_f16_e32 v82, v46, v82
	v_mul_f16_e32 v95, 0xb853, v68
	v_add_f16_e32 v79, v11, v79
	v_fma_f16 v88, v15, 0xbbad, -v86
	v_mul_f16_e32 v89, 0x3b47, v65
	v_add_f16_e32 v82, v94, v82
	v_fmamk_f16 v94, v19, 0x3abb, v95
	v_mul_f16_e32 v97, 0xb482, v52
	v_fma_f16 v54, v55, 0x36a6, -v54
	v_add_f16_e32 v79, v88, v79
	v_fma_f16 v88, v71, 0x36a6, -v89
	v_mul_f16_e32 v91, 0xb853, v70
	v_add_f16_e32 v82, v94, v82
	v_fmamk_f16 v94, v50, 0xbbad, v97
	v_mul_f16_e32 v99, 0x3b47, v61
	v_add_f16_e32 v54, v46, v54
	v_fma_f16 v57, v63, 0xb93d, -v57
	v_add_f16_e32 v79, v88, v79
	v_fma_f16 v88, v75, 0x3abb, -v91
	v_mul_f16_e32 v93, 0xba0c, v74
	v_add_f16_e32 v82, v94, v82
	v_fmamk_f16 v94, v69, 0x36a6, v99
	v_mul_f16_e32 v102, 0xb482, v21
	v_fmac_f16_e32 v59, 0x36a6, v58
	v_add_f16_e32 v54, v57, v54
	v_fma_f16 v18, v19, 0xbbad, -v18
	v_add_f16_e32 v79, v88, v79
	v_fma_f16 v88, v80, 0xb93d, -v93
	v_mul_f16_e32 v96, 0xba0c, v16
	v_add_f16_e32 v82, v94, v82
	v_fmamk_f16 v94, v55, 0xbbad, v102
	v_mul_f16_e32 v104, 0x3853, v17
	v_fma_f16 v102, v55, 0xbbad, -v102
	v_fma_f16 v90, v55, 0xb93d, -v90
	;; [unrolled: 1-line block ×3, first 2 shown]
	v_add_f16_e32 v59, v11, v59
	v_fmac_f16_e32 v48, 0xb93d, v15
	v_add_f16_e32 v18, v18, v54
	v_mul_f16_e32 v54, 0x3abb, v55
	v_add_f16_e32 v79, v88, v79
	v_fma_f16 v88, v58, 0xb93d, -v96
	v_mul_f16_e32 v98, 0x3beb, v62
	v_add_f16_e32 v94, v46, v94
	v_fmamk_f16 v106, v63, 0x3abb, v104
	v_mul_f16_e32 v107, 0xba0c, v68
	v_add_f16_e32 v102, v46, v102
	v_fma_f16 v104, v63, 0x3abb, -v104
	v_add_f16_e32 v90, v46, v90
	v_fma_f16 v92, v63, 0xb08e, -v92
	;; [unrolled: 2-line block ×3, first 2 shown]
	v_fma_f16 v20, v50, 0xb08e, -v20
	v_add_f16_e32 v48, v48, v59
	v_fmac_f16_e32 v72, 0xbbad, v71
	v_fmamk_f16 v55, v21, 0x3853, v54
	v_mul_f16_e32 v59, 0x36a6, v63
	v_add_f16_e32 v88, v11, v88
	v_fma_f16 v100, v15, 0xb08e, -v98
	v_mul_f16_e32 v101, 0xb853, v65
	v_add_f16_e32 v94, v106, v94
	v_fmamk_f16 v106, v19, 0xb93d, v107
	v_add_f16_e32 v102, v104, v102
	v_fma_f16 v104, v19, 0xb93d, -v107
	v_add_f16_e32 v90, v92, v90
	v_fma_f16 v92, v19, 0x3abb, -v95
	;; [unrolled: 2-line block ×3, first 2 shown]
	v_add_f16_e32 v18, v20, v18
	v_add_f16_e32 v20, v72, v48
	;; [unrolled: 1-line block ×3, first 2 shown]
	v_fmamk_f16 v55, v17, 0x3b47, v59
	v_mul_f16_e32 v19, 0xb08e, v19
	v_add_f16_e32 v88, v100, v88
	v_fma_f16 v100, v71, 0x3abb, -v101
	v_mul_f16_e32 v103, 0xb482, v70
	v_mul_f16_e32 v108, 0xb482, v16
	;; [unrolled: 1-line block ×3, first 2 shown]
	v_fma_f16 v49, v69, 0x3abb, -v49
	v_add_f16_e32 v48, v55, v48
	v_fmamk_f16 v55, v68, 0x3beb, v19
	v_mul_f16_e32 v16, 0xb853, v16
	v_add_f16_e32 v53, v11, v53
	v_add_f16_e32 v22, v22, v46
	;; [unrolled: 1-line block ×3, first 2 shown]
	v_fma_f16 v100, v75, 0xbbad, -v103
	v_mul_f16_e32 v105, 0x3b47, v74
	v_add_f16_e32 v94, v106, v94
	v_fmamk_f16 v106, v50, 0x36a6, v109
	v_add_f16_e32 v102, v104, v102
	v_fma_f16 v104, v50, 0x36a6, -v109
	v_add_f16_e32 v90, v92, v90
	v_fma_f16 v92, v50, 0xbbad, -v97
	;; [unrolled: 2-line block ×3, first 2 shown]
	v_add_f16_e32 v18, v49, v18
	v_add_f16_e32 v48, v55, v48
	v_mul_f16_e32 v49, 0xb93d, v50
	v_fmamk_f16 v50, v58, 0x3abb, v16
	v_mul_f16_e32 v55, 0xbb47, v62
	v_add_f16_e32 v53, v56, v53
	v_add_f16_e32 v9, v9, v22
	;; [unrolled: 1-line block ×3, first 2 shown]
	v_fma_f16 v100, v80, 0x36a6, -v105
	v_add_f16_e32 v50, v11, v50
	v_fmamk_f16 v22, v15, 0x36a6, v55
	v_mul_f16_e32 v56, 0xbbeb, v65
	v_add_f16_e32 v53, v64, v53
	v_add_f16_e32 v6, v6, v9
	;; [unrolled: 1-line block ×3, first 2 shown]
	v_fma_f16 v100, v58, 0xbbad, -v108
	v_mul_f16_e32 v110, 0x3853, v62
	v_add_f16_e32 v9, v22, v50
	v_fmamk_f16 v22, v71, 0xb08e, v56
	v_mul_f16_e32 v50, 0xba0c, v70
	v_add_f16_e32 v53, v66, v53
	v_add_f16_e32 v6, v7, v6
	v_mul_f16_e32 v111, 0xbbeb, v61
	v_add_f16_e32 v100, v11, v100
	v_fma_f16 v112, v15, 0x3abb, -v110
	v_mul_f16_e32 v113, 0xba0c, v65
	v_add_f16_e32 v9, v22, v9
	v_fmamk_f16 v22, v75, 0xb93d, v50
	v_add_f16_e32 v51, v51, v53
	v_add_f16_e32 v0, v0, v6
	;; [unrolled: 1-line block ×3, first 2 shown]
	v_fmamk_f16 v106, v69, 0xb08e, v111
	v_add_f16_e32 v100, v112, v100
	v_fma_f16 v112, v71, 0xb93d, -v113
	v_mul_f16_e32 v114, 0x3b47, v70
	v_add_f16_e32 v9, v22, v9
	v_add_f16_e32 v22, v60, v51
	;; [unrolled: 1-line block ×3, first 2 shown]
	v_fmac_f16_e32 v96, 0xb93d, v58
	v_fmac_f16_e32 v84, 0xb08e, v58
	v_add_f16_e32 v94, v106, v94
	v_add_f16_e32 v100, v112, v100
	v_fma_f16 v106, v75, 0x36a6, -v114
	v_mul_f16_e32 v112, 0xbbeb, v74
	v_fmac_f16_e32 v108, 0xbbad, v58
	v_fmac_f16_e32 v54, 0xb853, v21
	v_fma_f16 v16, v58, 0x3abb, -v16
	v_add_f16_e32 v21, v67, v22
	v_add_f16_e32 v0, v2, v0
	;; [unrolled: 1-line block ×3, first 2 shown]
	v_fmac_f16_e32 v98, 0xb08e, v15
	v_add_f16_e32 v84, v11, v84
	v_fmac_f16_e32 v86, 0xbbad, v15
	v_add_f16_e32 v100, v106, v100
	v_fma_f16 v106, v80, 0xb08e, -v112
	v_add_f16_e32 v107, v11, v108
	v_fmac_f16_e32 v110, 0x3abb, v15
	v_add_f16_e32 v2, v46, v54
	v_fmac_f16_e32 v59, 0xbb47, v17
	v_add_f16_e32 v11, v11, v16
	v_fma_f16 v15, v15, 0x36a6, -v55
	v_add_f16_e32 v5, v5, v21
	v_add_f16_e32 v0, v3, v0
	;; [unrolled: 1-line block ×3, first 2 shown]
	v_fmac_f16_e32 v101, 0x3abb, v71
	v_add_f16_e32 v84, v86, v84
	v_fmac_f16_e32 v89, 0x36a6, v71
	v_add_f16_e32 v100, v106, v100
	v_add_f16_e32 v106, v110, v107
	v_fmac_f16_e32 v113, 0xb93d, v71
	v_add_f16_e32 v2, v59, v2
	v_fmac_f16_e32 v19, 0xbbeb, v68
	v_add_f16_e32 v3, v15, v11
	v_fma_f16 v11, v71, 0xb08e, -v56
	v_fmac_f16_e32 v76, 0xb08e, v75
	v_fmamk_f16 v62, v52, 0x3a0c, v49
	v_mul_f16_e32 v7, 0xbbad, v69
	v_mul_f16_e32 v53, 0xb482, v74
	v_add_f16_e32 v5, v12, v5
	v_add_f16_e32 v0, v4, v0
	;; [unrolled: 1-line block ×3, first 2 shown]
	v_fmac_f16_e32 v103, 0xbbad, v75
	v_add_f16_e32 v73, v78, v73
	v_fma_f16 v78, v69, 0xb93d, -v87
	v_add_f16_e32 v84, v89, v84
	v_fmac_f16_e32 v91, 0x3abb, v75
	v_add_f16_e32 v106, v113, v106
	v_fmac_f16_e32 v114, 0x36a6, v75
	;; [unrolled: 2-line block ×3, first 2 shown]
	v_add_f16_e32 v3, v11, v3
	v_fma_f16 v4, v75, 0xb93d, -v50
	v_add_f16_e32 v20, v76, v20
	v_fmac_f16_e32 v81, 0x3abb, v80
	v_add_f16_e32 v48, v62, v48
	v_fmamk_f16 v6, v61, 0x3482, v7
	v_fmamk_f16 v1, v80, 0xbbad, v53
	v_add_f16_e32 v5, v47, v5
	v_add_f16_e32 v0, v10, v0
	;; [unrolled: 1-line block ×3, first 2 shown]
	v_fma_f16 v92, v69, 0x36a6, -v99
	v_add_f16_e32 v83, v103, v96
	v_fmac_f16_e32 v105, 0x36a6, v80
	v_add_f16_e32 v57, v78, v73
	v_add_f16_e32 v73, v91, v84
	v_fmac_f16_e32 v93, 0xb93d, v80
	v_add_f16_e32 v102, v104, v102
	v_fma_f16 v104, v69, 0xb08e, -v111
	v_add_f16_e32 v95, v114, v106
	v_fmac_f16_e32 v112, 0xb08e, v80
	v_add_f16_e32 v2, v49, v2
	v_fmac_f16_e32 v7, 0xb482, v61
	v_add_f16_e32 v3, v4, v3
	v_fma_f16 v4, v80, 0xbbad, -v53
	v_add_f16_e32 v20, v81, v20
	v_pack_b32_f16 v0, v5, v0
	v_add_f16_e32 v5, v6, v48
	v_add_f16_e32 v1, v1, v9
	;; [unrolled: 1-line block ×9, first 2 shown]
	ds_store_b32 v30, v0
	v_lshl_add_u32 v0, v35, 2, v45
	v_pack_b32_f16 v1, v1, v5
	v_pack_b32_f16 v4, v20, v18
	;; [unrolled: 1-line block ×10, first 2 shown]
	ds_store_2addr_b32 v0, v1, v4 offset0:20 offset1:40
	ds_store_2addr_b32 v0, v5, v6 offset0:60 offset1:80
	;; [unrolled: 1-line block ×5, first 2 shown]
.LBB0_9:
	s_wait_alu 0xfffe
	s_or_b32 exec_lo, exec_lo, s0
	global_wb scope:SCOPE_SE
	s_wait_dscnt 0x0
	s_barrier_signal -1
	s_barrier_wait -1
	global_inv scope:SCOPE_SE
	ds_load_2addr_b32 v[0:1], v30 offset1:22
	ds_load_2addr_b32 v[2:3], v30 offset0:44 offset1:66
	s_mov_b32 s8, 0x29e4129e
	s_mov_b32 s9, 0x3f729e41
	v_mad_co_u64_u32 v[17:18], null, s4, v35, 0
	s_wait_dscnt 0x1
	v_lshrrev_b32_e32 v4, 16, v0
	v_mul_f16_e32 v5, v44, v0
	v_lshrrev_b32_e32 v6, 16, v1
	v_mul_f16_e32 v7, v43, v1
	s_wait_dscnt 0x0
	v_lshrrev_b32_e32 v13, 16, v2
	v_mul_f16_e32 v9, v44, v4
	v_fma_f16 v5, v38, v4, -v5
	v_mul_f16_e32 v10, v43, v6
	v_fma_f16 v4, v39, v6, -v7
	v_mul_f16_e32 v11, v42, v13
	v_fmac_f16_e32 v9, v38, v0
	v_cvt_f32_f16_e32 v5, v5
	v_fmac_f16_e32 v10, v39, v1
	v_cvt_f32_f16_e32 v0, v4
	v_fmac_f16_e32 v11, v37, v2
	v_cvt_f32_f16_e32 v9, v9
	v_cvt_f64_f32_e32 v[4:5], v5
	v_mul_f16_e32 v2, v42, v2
	v_cvt_f64_f32_e32 v[6:7], v0
	v_cvt_f32_f16_e32 v11, v11
	v_cvt_f64_f32_e32 v[0:1], v9
	v_cvt_f32_f16_e32 v9, v10
	v_fma_f16 v2, v37, v13, -v2
	v_mad_co_u64_u32 v[13:14], null, s6, v8, 0
	v_cvt_f64_f32_e32 v[11:12], v11
	s_delay_alu instid0(VALU_DEP_4) | instskip(NEXT) | instid1(VALU_DEP_4)
	v_cvt_f64_f32_e32 v[9:10], v9
	v_cvt_f32_f16_e32 v2, v2
	s_delay_alu instid0(VALU_DEP_1) | instskip(SKIP_4) | instid1(VALU_DEP_3)
	v_cvt_f64_f32_e32 v[15:16], v2
	s_wait_alu 0xfffe
	v_mul_f64_e32 v[4:5], s[8:9], v[4:5]
	v_mul_f64_e32 v[6:7], s[8:9], v[6:7]
	;; [unrolled: 1-line block ×3, first 2 shown]
	v_bfe_u32 v21, v5, 20, 11
	v_mov_b32_e32 v2, v14
	v_mov_b32_e32 v14, v18
	v_and_or_b32 v4, 0x1ff, v5, v4
	v_and_or_b32 v6, 0x1ff, v7, v6
	v_sub_nc_u32_e32 v39, 0x3f1, v21
	v_add_nc_u32_e32 v21, 0xfffffc10, v21
	v_mad_co_u64_u32 v[18:19], null, s7, v8, v[2:3]
	v_mul_f64_e32 v[8:9], s[8:9], v[9:10]
	v_mul_f64_e32 v[10:11], s[8:9], v[11:12]
	v_lshrrev_b32_e32 v2, 16, v3
	v_mad_co_u64_u32 v[19:20], null, s5, v35, v[14:15]
	v_and_or_b32 v0, 0x1ff, v1, v0
	v_bfe_u32 v38, v1, 20, 11
	s_delay_alu instid0(VALU_DEP_4)
	v_mul_f16_e32 v20, v41, v2
	v_lshrrev_b32_e32 v22, 8, v7
	v_bfe_u32 v35, v7, 20, 11
	v_lshrrev_b32_e32 v37, 8, v1
	v_sub_nc_u32_e32 v47, 0x3f1, v38
	v_fmac_f16_e32 v20, v33, v3
	v_add_nc_u32_e32 v38, 0xfffffc10, v38
	v_sub_nc_u32_e32 v44, 0x3f1, v35
	v_add_nc_u32_e32 v35, 0xfffffc10, v35
	v_lshrrev_b32_e32 v1, 16, v1
	v_bfe_u32 v43, v9, 20, 11
	v_mov_b32_e32 v14, v18
	v_mov_b32_e32 v18, v19
	v_and_or_b32 v8, 0x1ff, v9, v8
	v_and_or_b32 v10, 0x1ff, v11, v10
	v_lshrrev_b32_e32 v42, 8, v9
	v_lshlrev_b64_e32 v[12:13], 2, v[13:14]
	v_cvt_f32_f16_e32 v14, v20
	v_lshrrev_b32_e32 v45, 8, v11
	v_bfe_u32 v46, v11, 20, 11
	v_lshrrev_b32_e32 v11, 16, v11
	v_add_co_u32 v19, vcc_lo, s2, v12
	s_wait_alu 0xfffd
	v_add_co_ci_u32_e32 v20, vcc_lo, s3, v13, vcc_lo
	v_cmp_ne_u32_e32 vcc_lo, 0, v4
	v_cvt_f64_f32_e32 v[12:13], v14
	v_mul_f64_e32 v[14:15], s[8:9], v[15:16]
	v_lshrrev_b32_e32 v16, 8, v5
	v_lshrrev_b32_e32 v5, 16, v5
	s_wait_alu 0xfffd
	v_cndmask_b32_e64 v4, 0, 1, vcc_lo
	v_cmp_ne_u32_e32 vcc_lo, 0, v6
	s_delay_alu instid0(VALU_DEP_2)
	v_and_or_b32 v4, 0xffe, v16, v4
	s_wait_alu 0xfffd
	v_cndmask_b32_e64 v6, 0, 1, vcc_lo
	v_cmp_ne_u32_e32 vcc_lo, 0, v0
	v_med3_i32 v16, v39, 0, 13
	v_sub_nc_u32_e32 v39, 0x3f1, v43
	v_lshl_or_b32 v48, v21, 12, v4
	v_and_or_b32 v6, 0xffe, v22, v6
	s_wait_alu 0xfffd
	v_cndmask_b32_e64 v0, 0, 1, vcc_lo
	v_cmp_ne_u32_e32 vcc_lo, 0, v8
	v_med3_i32 v22, v44, 0, 13
	v_add_nc_u32_e32 v43, 0xfffffc10, v43
	v_med3_i32 v39, v39, 0, 13
	v_and_or_b32 v0, 0xffe, v37, v0
	s_wait_alu 0xfffd
	v_cndmask_b32_e64 v8, 0, 1, vcc_lo
	v_cmp_ne_u32_e32 vcc_lo, 0, v10
	v_med3_i32 v37, v47, 0, 13
	v_or_b32_e32 v47, 0x1000, v4
	v_lshl_or_b32 v50, v38, 12, v0
	v_and_or_b32 v8, 0xffe, v42, v8
	s_wait_alu 0xfffd
	v_cndmask_b32_e64 v10, 0, 1, vcc_lo
	v_cmp_ne_u32_e32 vcc_lo, 0, v4
	v_or_b32_e32 v42, 0x1000, v6
	v_lshrrev_b32_e32 v51, v16, v47
	v_or_b32_e32 v52, 0x1000, v8
	v_and_or_b32 v10, 0xffe, v45, v10
	s_wait_alu 0xfffd
	v_cndmask_b32_e64 v4, 0, 1, vcc_lo
	v_cmp_ne_u32_e32 vcc_lo, 0, v0
	v_or_b32_e32 v45, 0x1000, v0
	v_lshrrev_b32_e32 v54, v22, v42
	v_lshlrev_b32_e32 v16, v16, v51
	v_lshl_or_b32 v53, v43, 12, v8
	s_wait_alu 0xfffd
	v_cndmask_b32_e64 v0, 0, 1, vcc_lo
	v_cmp_ne_u32_e32 vcc_lo, 0, v8
	v_lshrrev_b32_e32 v56, v37, v45
	v_lshlrev_b32_e32 v22, v22, v54
	v_lshrrev_b32_e32 v57, v39, v52
	v_lshl_or_b32 v49, v35, 12, v6
	s_wait_alu 0xfffd
	v_cndmask_b32_e64 v8, 0, 1, vcc_lo
	v_cmp_ne_u32_e32 vcc_lo, v16, v47
	v_lshlrev_b32_e32 v37, v37, v56
	v_lshl_or_b32 v0, v0, 9, 0x7c00
	v_lshl_or_b32 v4, v4, 9, 0x7c00
	v_sub_nc_u32_e32 v44, 0x3f1, v46
	s_wait_alu 0xfffd
	v_cndmask_b32_e64 v16, 0, 1, vcc_lo
	v_cmp_ne_u32_e32 vcc_lo, v22, v42
	v_or_b32_e32 v55, 0x1000, v10
	v_lshl_or_b32 v8, v8, 9, 0x7c00
	v_med3_i32 v44, v44, 0, 13
	v_or_b32_e32 v16, v51, v16
	v_lshlrev_b32_e32 v39, v39, v57
	s_wait_alu 0xfffd
	v_cndmask_b32_e64 v22, 0, 1, vcc_lo
	v_cmp_ne_u32_e32 vcc_lo, v37, v45
	v_lshlrev_b64_e32 v[17:18], 2, v[17:18]
	s_delay_alu instid0(VALU_DEP_3) | instskip(SKIP_3) | instid1(VALU_DEP_2)
	v_or_b32_e32 v22, v54, v22
	s_wait_alu 0xfffd
	v_cndmask_b32_e64 v37, 0, 1, vcc_lo
	v_cmp_ne_u32_e32 vcc_lo, v39, v52
	v_or_b32_e32 v37, v56, v37
	s_wait_alu 0xfffd
	v_cndmask_b32_e64 v39, 0, 1, vcc_lo
	v_cmp_gt_i32_e32 vcc_lo, 1, v21
	s_delay_alu instid0(VALU_DEP_2) | instskip(SKIP_4) | instid1(VALU_DEP_2)
	v_or_b32_e32 v39, v57, v39
	s_wait_alu 0xfffd
	v_cndmask_b32_e32 v16, v48, v16, vcc_lo
	v_cmp_gt_i32_e32 vcc_lo, 1, v38
	s_wait_alu 0xfffd
	v_dual_cndmask_b32 v37, v50, v37 :: v_dual_and_b32 v42, 7, v16
	v_cmp_gt_i32_e32 vcc_lo, 1, v35
	v_lshrrev_b32_e32 v16, 2, v16
	s_delay_alu instid0(VALU_DEP_3)
	v_cmp_lt_i32_e64 s1, 5, v42
	s_wait_alu 0xfffd
	v_dual_cndmask_b32 v22, v49, v22 :: v_dual_and_b32 v45, 7, v37
	v_cmp_gt_i32_e32 vcc_lo, 1, v43
	v_lshrrev_b32_e32 v37, 2, v37
	v_cmp_eq_u32_e64 s2, 3, v42
	s_delay_alu instid0(VALU_DEP_4) | instskip(SKIP_3) | instid1(VALU_DEP_2)
	v_cmp_eq_u32_e64 s0, 3, v45
	s_wait_alu 0xfffd
	v_cndmask_b32_e32 v39, v53, v39, vcc_lo
	v_cmp_lt_i32_e32 vcc_lo, 5, v45
	v_and_b32_e32 v42, 7, v39
	s_or_b32 vcc_lo, s0, vcc_lo
	v_cmp_gt_i32_e64 s0, 31, v38
	s_wait_alu 0xfffe
	v_add_co_ci_u32_e32 v37, vcc_lo, 0, v37, vcc_lo
	s_or_b32 vcc_lo, s2, s1
	v_cmp_gt_i32_e64 s1, 31, v21
	s_wait_alu 0xfffe
	v_add_co_ci_u32_e32 v16, vcc_lo, 0, v16, vcc_lo
	v_cmp_lt_i32_e32 vcc_lo, 5, v42
	v_cndmask_b32_e64 v37, 0x7c00, v37, s0
	v_cmp_eq_u32_e64 s0, 3, v42
	v_lshrrev_b32_e32 v39, 2, v39
	s_wait_alu 0xf1ff
	v_cndmask_b32_e64 v16, 0x7c00, v16, s1
	v_cmp_eq_u32_e64 s1, 0x40f, v38
	s_mul_u64 s[2:3], s[4:5], 0x58
	s_or_b32 vcc_lo, s0, vcc_lo
	v_cmp_gt_i32_e64 s0, 31, v43
	s_delay_alu instid0(VALU_DEP_2)
	v_cndmask_b32_e64 v0, v37, v0, s1
	s_wait_alu 0xfffe
	v_add_co_ci_u32_e32 v37, vcc_lo, 0, v39, vcc_lo
	v_cmp_eq_u32_e32 vcc_lo, 0x40f, v21
	v_and_b32_e32 v47, 7, v22
	v_and_or_b32 v0, 0x8000, v1, v0
	s_wait_alu 0xf1ff
	v_cndmask_b32_e64 v1, 0x7c00, v37, s0
	v_cmp_eq_u32_e64 s1, 0x40f, v43
	s_wait_alu 0xfffd
	v_cndmask_b32_e32 v4, v16, v4, vcc_lo
	v_cmp_lt_i32_e32 vcc_lo, 5, v47
	v_cmp_eq_u32_e64 s0, 3, v47
	v_and_b32_e32 v0, 0xffff, v0
	s_wait_alu 0xf1ff
	v_cndmask_b32_e64 v1, v1, v8, s1
	v_and_or_b32 v4, 0x8000, v5, v4
	v_lshrrev_b32_e32 v5, 2, v22
	s_or_b32 vcc_lo, s0, vcc_lo
	s_delay_alu instid0(VALU_DEP_2) | instskip(SKIP_1) | instid1(VALU_DEP_2)
	v_lshl_or_b32 v16, v4, 16, v0
	s_wait_alu 0xfffe
	v_add_co_ci_u32_e32 v0, vcc_lo, 0, v5, vcc_lo
	v_cmp_ne_u32_e32 vcc_lo, 0, v6
	v_lshrrev_b32_e32 v5, v44, v55
	v_lshrrev_b32_e32 v6, 16, v9
	;; [unrolled: 1-line block ×3, first 2 shown]
	s_wait_alu 0xfffd
	v_cndmask_b32_e64 v4, 0, 1, vcc_lo
	v_cmp_gt_i32_e32 vcc_lo, 31, v35
	v_lshlrev_b32_e32 v8, v44, v5
	v_and_or_b32 v6, 0x8000, v6, v1
	v_mul_f16_e32 v1, v41, v3
	v_lshl_or_b32 v4, v4, 9, 0x7c00
	s_wait_alu 0xfffd
	v_cndmask_b32_e32 v0, 0x7c00, v0, vcc_lo
	v_cmp_eq_u32_e32 vcc_lo, 0x40f, v35
	v_fma_f16 v1, v33, v2, -v1
	v_and_or_b32 v2, 0x1ff, v15, v14
	v_and_b32_e32 v33, 0xffff, v6
	s_wait_alu 0xfffd
	v_cndmask_b32_e32 v3, v0, v4, vcc_lo
	v_cmp_ne_u32_e32 vcc_lo, v8, v55
	v_add_nc_u32_e32 v8, 0xfffffc10, v46
	v_lshrrev_b32_e32 v4, 16, v7
	v_bfe_u32 v14, v15, 20, 11
	v_lshrrev_b32_e32 v15, 16, v15
	s_wait_alu 0xfffd
	v_cndmask_b32_e64 v0, 0, 1, vcc_lo
	v_cmp_ne_u32_e32 vcc_lo, 0, v2
	v_lshl_or_b32 v7, v8, 12, v10
	s_delay_alu instid0(VALU_DEP_3) | instskip(SKIP_4) | instid1(VALU_DEP_3)
	v_or_b32_e32 v5, v5, v0
	s_wait_alu 0xfffd
	v_cndmask_b32_e64 v2, 0, 1, vcc_lo
	v_cmp_gt_i32_e32 vcc_lo, 1, v8
	v_cvt_f32_f16_e32 v0, v1
	v_and_or_b32 v22, 0xffe, v9, v2
	s_wait_alu 0xfffd
	v_cndmask_b32_e32 v21, v7, v5, vcc_lo
	s_delay_alu instid0(VALU_DEP_3) | instskip(SKIP_2) | instid1(VALU_DEP_4)
	v_cvt_f64_f32_e32 v[0:1], v0
	v_and_or_b32 v9, 0x8000, v4, v3
	v_add_co_u32 v6, vcc_lo, v19, v17
	v_and_b32_e32 v35, 7, v21
	s_wait_alu 0xfffd
	v_add_co_ci_u32_e32 v7, vcc_lo, v20, v18, vcc_lo
	v_lshl_or_b32 v17, v9, 16, v33
	v_lshrrev_b32_e32 v9, 2, v21
	v_cmp_lt_i32_e32 vcc_lo, 5, v35
	v_cmp_eq_u32_e64 s0, 3, v35
	v_sub_nc_u32_e32 v2, 0x3f1, v14
	v_or_b32_e32 v37, 0x1000, v22
	ds_load_2addr_b32 v[4:5], v30 offset0:88 offset1:110
	v_add_nc_u32_e32 v14, 0xfffffc10, v14
	s_or_b32 vcc_lo, s0, vcc_lo
	v_med3_i32 v38, v2, 0, 13
	s_wait_alu 0xfffe
	v_add_co_ci_u32_e32 v9, vcc_lo, 0, v9, vcc_lo
	v_mul_f64_e32 v[2:3], s[8:9], v[12:13]
	v_cmp_ne_u32_e32 vcc_lo, 0, v10
	v_lshrrev_b32_e32 v12, v38, v37
	s_wait_alu 0xfffd
	v_cndmask_b32_e64 v10, 0, 1, vcc_lo
	s_delay_alu instid0(VALU_DEP_1) | instskip(NEXT) | instid1(VALU_DEP_3)
	v_lshl_or_b32 v10, v10, 9, 0x7c00
	v_lshlrev_b32_e32 v13, v38, v12
	s_wait_dscnt 0x0
	v_lshrrev_b32_e32 v18, 16, v4
	s_delay_alu instid0(VALU_DEP_2) | instskip(NEXT) | instid1(VALU_DEP_2)
	v_cmp_ne_u32_e32 vcc_lo, v13, v37
	v_mul_f16_e32 v19, v40, v18
	v_mul_f64_e32 v[0:1], s[8:9], v[0:1]
	s_wait_alu 0xfffd
	v_cndmask_b32_e64 v13, 0, 1, vcc_lo
	v_cmp_gt_i32_e32 vcc_lo, 31, v8
	v_fmac_f16_e32 v19, v32, v4
	v_mul_f16_e32 v4, v40, v4
	s_delay_alu instid0(VALU_DEP_4)
	v_or_b32_e32 v12, v12, v13
	s_wait_alu 0xfffd
	v_cndmask_b32_e32 v9, 0x7c00, v9, vcc_lo
	v_lshl_or_b32 v13, v14, 12, v22
	v_cmp_gt_i32_e32 vcc_lo, 1, v14
	v_cvt_f32_f16_e32 v19, v19
	v_fma_f16 v4, v32, v18, -v4
	s_wait_alu 0xfffd
	v_cndmask_b32_e32 v12, v13, v12, vcc_lo
	v_cmp_eq_u32_e32 vcc_lo, 0x40f, v8
	s_delay_alu instid0(VALU_DEP_3) | instskip(SKIP_4) | instid1(VALU_DEP_3)
	v_cvt_f32_f16_e32 v4, v4
	v_and_or_b32 v2, 0x1ff, v3, v2
	s_wait_alu 0xfffd
	v_dual_cndmask_b32 v10, v9, v10 :: v_dual_and_b32 v13, 7, v12
	v_add_co_u32 v8, vcc_lo, v6, s2
	v_cmp_ne_u32_e64 s1, 0, v2
	s_wait_alu 0xfffd
	v_add_co_ci_u32_e32 v9, vcc_lo, s3, v7, vcc_lo
	v_and_or_b32 v20, 0x8000, v11, v10
	v_cvt_f64_f32_e32 v[10:11], v19
	v_cmp_lt_i32_e32 vcc_lo, 5, v13
	v_cmp_eq_u32_e64 s0, 3, v13
	v_lshrrev_b32_e32 v12, 2, v12
	s_wait_alu 0xf1ff
	v_cndmask_b32_e64 v2, 0, 1, s1
	v_lshrrev_b32_e32 v13, 8, v3
	v_bfe_u32 v19, v3, 20, 11
	s_or_b32 vcc_lo, s0, vcc_lo
	s_clause 0x1
	global_store_b32 v[6:7], v16, off
	global_store_b32 v[8:9], v17, off
	s_wait_alu 0xfffe
	v_add_co_ci_u32_e32 v12, vcc_lo, 0, v12, vcc_lo
	v_and_or_b32 v2, 0xffe, v13, v2
	v_sub_nc_u32_e32 v13, 0x3f1, v19
	v_cmp_ne_u32_e32 vcc_lo, 0, v22
	v_and_or_b32 v0, 0x1ff, v1, v0
	v_bfe_u32 v32, v1, 20, 11
	v_or_b32_e32 v22, 0x1000, v2
	v_med3_i32 v13, v13, 0, 13
	s_wait_alu 0xfffd
	v_cndmask_b32_e64 v21, 0, 1, vcc_lo
	v_cmp_gt_i32_e32 vcc_lo, 31, v14
	v_lshrrev_b32_e32 v16, 16, v5
	v_add_nc_u32_e32 v17, 0xfffffc10, v32
	s_delay_alu instid0(VALU_DEP_4)
	v_lshl_or_b32 v18, v21, 9, 0x7c00
	s_wait_alu 0xfffd
	v_cndmask_b32_e32 v12, 0x7c00, v12, vcc_lo
	v_lshrrev_b32_e32 v21, v13, v22
	v_cmp_eq_u32_e32 vcc_lo, 0x40f, v14
	s_wait_alu 0xfffd
	s_delay_alu instid0(VALU_DEP_3) | instskip(NEXT) | instid1(VALU_DEP_3)
	v_cndmask_b32_e32 v14, v12, v18, vcc_lo
	v_lshlrev_b32_e32 v18, v13, v21
	v_cmp_ne_u32_e32 vcc_lo, 0, v0
	v_cvt_f64_f32_e32 v[12:13], v4
	v_lshrrev_b32_e32 v4, 8, v1
	v_and_or_b32 v14, 0x8000, v15, v14
	v_and_b32_e32 v15, 0xffff, v20
	s_wait_alu 0xfffd
	v_cndmask_b32_e64 v0, 0, 1, vcc_lo
	v_cmp_ne_u32_e32 vcc_lo, v18, v22
	v_mul_f64_e32 v[10:11], s[8:9], v[10:11]
	v_lshl_or_b32 v14, v14, 16, v15
	s_delay_alu instid0(VALU_DEP_4) | instskip(SKIP_3) | instid1(VALU_DEP_3)
	v_and_or_b32 v0, 0xffe, v4, v0
	s_wait_alu 0xfffd
	v_cndmask_b32_e64 v18, 0, 1, vcc_lo
	v_sub_nc_u32_e32 v4, 0x3f1, v32
	v_or_b32_e32 v22, 0x1000, v0
	s_delay_alu instid0(VALU_DEP_3) | instskip(SKIP_1) | instid1(VALU_DEP_4)
	v_or_b32_e32 v18, v21, v18
	v_add_nc_u32_e32 v19, 0xfffffc10, v19
	v_med3_i32 v4, v4, 0, 13
	s_delay_alu instid0(VALU_DEP_2) | instskip(SKIP_1) | instid1(VALU_DEP_3)
	v_lshl_or_b32 v21, v19, 12, v2
	v_cmp_gt_i32_e32 vcc_lo, 1, v19
	v_lshrrev_b32_e32 v20, v4, v22
	s_wait_alu 0xfffd
	s_delay_alu instid0(VALU_DEP_3) | instskip(NEXT) | instid1(VALU_DEP_2)
	v_cndmask_b32_e32 v18, v21, v18, vcc_lo
	v_lshlrev_b32_e32 v4, v4, v20
	v_add_co_u32 v6, vcc_lo, v8, s2
	s_wait_alu 0xfffd
	v_add_co_ci_u32_e32 v7, vcc_lo, s3, v9, vcc_lo
	v_and_b32_e32 v15, 7, v18
	v_cmp_ne_u32_e64 s0, v4, v22
	v_lshrrev_b32_e32 v18, 2, v18
	v_lshrrev_b32_e32 v22, 16, v3
	global_store_b32 v[6:7], v14, off
	v_cmp_lt_i32_e32 vcc_lo, 5, v15
	s_wait_alu 0xf1ff
	v_cndmask_b32_e64 v4, 0, 1, s0
	v_cmp_eq_u32_e64 s0, 3, v15
	v_mul_f64_e32 v[8:9], s[8:9], v[12:13]
	v_mul_f16_e32 v15, v36, v16
	s_delay_alu instid0(VALU_DEP_4) | instskip(NEXT) | instid1(VALU_DEP_4)
	v_or_b32_e32 v4, v20, v4
	s_or_b32 vcc_lo, s0, vcc_lo
	v_lshl_or_b32 v20, v17, 12, v0
	s_wait_alu 0xfffe
	v_add_co_ci_u32_e32 v12, vcc_lo, 0, v18, vcc_lo
	v_cmp_gt_i32_e32 vcc_lo, 1, v17
	v_fmac_f16_e32 v15, v29, v5
	v_and_or_b32 v10, 0x1ff, v11, v10
	v_bfe_u32 v21, v11, 20, 11
	s_wait_alu 0xfffd
	v_cndmask_b32_e32 v4, v20, v4, vcc_lo
	v_cmp_gt_i32_e32 vcc_lo, 31, v19
	v_cvt_f32_f16_e32 v13, v15
	v_lshrrev_b32_e32 v20, 8, v11
	v_lshrrev_b32_e32 v11, 16, v11
	s_wait_alu 0xfffd
	v_cndmask_b32_e32 v15, 0x7c00, v12, vcc_lo
	v_cmp_ne_u32_e32 vcc_lo, 0, v10
	v_cvt_f64_f32_e32 v[12:13], v13
	s_wait_alu 0xfffd
	v_cndmask_b32_e64 v10, 0, 1, vcc_lo
	v_cmp_ne_u32_e32 vcc_lo, 0, v2
	s_delay_alu instid0(VALU_DEP_2)
	v_and_or_b32 v10, 0xffe, v20, v10
	v_sub_nc_u32_e32 v20, 0x3f1, v21
	v_add_nc_u32_e32 v21, 0xfffffc10, v21
	v_and_b32_e32 v18, 7, v4
	s_wait_alu 0xfffd
	v_cndmask_b32_e64 v2, 0, 1, vcc_lo
	v_lshrrev_b32_e32 v4, 2, v4
	v_med3_i32 v20, v20, 0, 13
	v_cmp_lt_i32_e32 vcc_lo, 5, v18
	v_cmp_eq_u32_e64 s0, 3, v18
	v_lshl_or_b32 v2, v2, 9, 0x7c00
	v_or_b32_e32 v18, 0x1000, v10
	s_delay_alu instid0(VALU_DEP_3)
	s_or_b32 vcc_lo, s0, vcc_lo
	s_wait_alu 0xfffe
	v_add_co_ci_u32_e32 v4, vcc_lo, 0, v4, vcc_lo
	v_cmp_eq_u32_e32 vcc_lo, 0x40f, v19
	v_lshrrev_b32_e32 v19, v20, v18
	s_wait_alu 0xfffd
	v_cndmask_b32_e32 v15, v15, v2, vcc_lo
	v_cmp_gt_i32_e32 vcc_lo, 31, v17
	v_mul_f16_e32 v2, v36, v5
	v_lshlrev_b32_e32 v3, v20, v19
	v_bfe_u32 v20, v9, 20, 11
	v_and_or_b32 v15, 0x8000, v22, v15
	s_wait_alu 0xfffd
	v_cndmask_b32_e32 v32, 0x7c00, v4, vcc_lo
	v_cmp_ne_u32_e32 vcc_lo, 0, v0
	v_and_or_b32 v4, 0x1ff, v9, v8
	v_fma_f16 v2, v29, v16, -v2
	v_and_b32_e32 v15, 0xffff, v15
	s_wait_alu 0xfffd
	v_cndmask_b32_e64 v0, 0, 1, vcc_lo
	v_cmp_ne_u32_e32 vcc_lo, v3, v18
	v_lshrrev_b32_e32 v18, 8, v9
	s_delay_alu instid0(VALU_DEP_3)
	v_lshl_or_b32 v0, v0, 9, 0x7c00
	s_wait_alu 0xfffd
	v_cndmask_b32_e64 v8, 0, 1, vcc_lo
	v_cmp_ne_u32_e32 vcc_lo, 0, v4
	v_cvt_f32_f16_e32 v4, v2
	v_mul_f64_e32 v[2:3], s[8:9], v[12:13]
	v_sub_nc_u32_e32 v12, 0x3f1, v20
	v_or_b32_e32 v8, v19, v8
	s_wait_alu 0xfffd
	v_cndmask_b32_e64 v16, 0, 1, vcc_lo
	v_cvt_f64_f32_e32 v[4:5], v4
	v_cmp_eq_u32_e32 vcc_lo, 0x40f, v17
	v_lshl_or_b32 v13, v21, 12, v10
	v_med3_i32 v12, v12, 0, 13
	v_and_or_b32 v16, 0xffe, v18, v16
	s_wait_alu 0xfffd
	v_cndmask_b32_e32 v17, v32, v0, vcc_lo
	v_cmp_gt_i32_e32 vcc_lo, 1, v21
	s_delay_alu instid0(VALU_DEP_3) | instskip(SKIP_3) | instid1(VALU_DEP_3)
	v_or_b32_e32 v18, 0x1000, v16
	s_wait_alu 0xfffd
	v_cndmask_b32_e32 v8, v13, v8, vcc_lo
	v_lshrrev_b32_e32 v13, 16, v1
	v_lshrrev_b32_e32 v19, v12, v18
	ds_load_2addr_b32 v[0:1], v30 offset0:132 offset1:154
	v_and_b32_e32 v22, 7, v8
	v_lshrrev_b32_e32 v8, 2, v8
	v_lshlrev_b32_e32 v12, v12, v19
	v_and_or_b32 v14, 0x8000, v13, v17
	v_add_nc_u32_e32 v17, 0xfffffc10, v20
	v_cmp_lt_i32_e32 vcc_lo, 5, v22
	v_cmp_eq_u32_e64 s0, 3, v22
	v_cmp_ne_u32_e64 s1, v12, v18
	s_delay_alu instid0(VALU_DEP_4) | instskip(NEXT) | instid1(VALU_DEP_3)
	v_lshl_or_b32 v13, v17, 12, v16
	s_or_b32 vcc_lo, s0, vcc_lo
	s_delay_alu instid0(VALU_DEP_2)
	v_cndmask_b32_e64 v12, 0, 1, s1
	s_wait_alu 0xfffe
	v_add_co_ci_u32_e32 v8, vcc_lo, 0, v8, vcc_lo
	v_cmp_ne_u32_e32 vcc_lo, 0, v10
	v_cmp_eq_u32_e64 s1, 0x40f, v21
	v_or_b32_e32 v12, v19, v12
	s_wait_dscnt 0x0
	v_lshrrev_b32_e32 v18, 16, v0
	v_and_or_b32 v2, 0x1ff, v3, v2
	s_wait_alu 0xfffd
	v_cndmask_b32_e64 v10, 0, 1, vcc_lo
	v_cmp_gt_i32_e32 vcc_lo, 1, v17
	v_mul_f64_e32 v[4:5], s[8:9], v[4:5]
	v_lshrrev_b32_e32 v20, 8, v3
	v_bfe_u32 v22, v3, 20, 11
	v_lshl_or_b32 v10, v10, 9, 0x7c00
	s_wait_alu 0xfffd
	v_cndmask_b32_e32 v19, v13, v12, vcc_lo
	v_cmp_gt_i32_e32 vcc_lo, 31, v21
	v_mul_f16_e32 v12, v34, v18
	v_lshrrev_b32_e32 v3, 16, v3
	s_wait_alu 0xfffd
	v_dual_cndmask_b32 v8, 0x7c00, v8 :: v_dual_and_b32 v13, 7, v19
	v_cmp_ne_u32_e32 vcc_lo, 0, v2
	v_fmac_f16_e32 v12, v27, v0
	v_mul_f16_e32 v0, v34, v0
	s_delay_alu instid0(VALU_DEP_4)
	v_cmp_eq_u32_e64 s0, 3, v13
	s_wait_alu 0xf1ff
	v_cndmask_b32_e64 v8, v8, v10, s1
	s_wait_alu 0xfffd
	v_cndmask_b32_e64 v2, 0, 1, vcc_lo
	v_cvt_f32_f16_e32 v12, v12
	v_cmp_lt_i32_e32 vcc_lo, 5, v13
	v_lshrrev_b32_e32 v10, 2, v19
	v_and_or_b32 v29, 0x8000, v11, v8
	v_and_or_b32 v2, 0xffe, v20, v2
	v_sub_nc_u32_e32 v20, 0x3f1, v22
	v_cvt_f64_f32_e32 v[12:13], v12
	s_or_b32 vcc_lo, s0, vcc_lo
	v_fma_f16 v0, v27, v18, -v0
	s_wait_alu 0xfffe
	v_add_co_ci_u32_e32 v10, vcc_lo, 0, v10, vcc_lo
	v_or_b32_e32 v19, 0x1000, v2
	v_med3_i32 v20, v20, 0, 13
	v_cmp_ne_u32_e32 vcc_lo, 0, v16
	v_cvt_f32_f16_e32 v0, v0
	s_delay_alu instid0(VALU_DEP_3)
	v_lshrrev_b32_e32 v21, v20, v19
	s_wait_alu 0xfffd
	v_cndmask_b32_e64 v16, 0, 1, vcc_lo
	v_cmp_gt_i32_e32 vcc_lo, 31, v17
	v_and_or_b32 v4, 0x1ff, v5, v4
	v_lshlrev_b32_e32 v8, v20, v21
	s_delay_alu instid0(VALU_DEP_4)
	v_lshl_or_b32 v16, v16, 9, 0x7c00
	s_wait_alu 0xfffd
	v_cndmask_b32_e32 v10, 0x7c00, v10, vcc_lo
	v_cmp_eq_u32_e32 vcc_lo, 0x40f, v17
	v_add_nc_u32_e32 v17, 0xfffffc10, v22
	v_lshrrev_b32_e32 v18, 8, v5
	v_lshrrev_b32_e32 v20, 16, v9
	s_wait_alu 0xfffd
	v_cndmask_b32_e32 v16, v10, v16, vcc_lo
	v_cmp_ne_u32_e32 vcc_lo, v8, v19
	v_bfe_u32 v19, v5, 20, 11
	v_cvt_f64_f32_e32 v[10:11], v0
	s_wait_alu 0xfffd
	v_cndmask_b32_e64 v8, 0, 1, vcc_lo
	v_cmp_ne_u32_e32 vcc_lo, 0, v4
	s_delay_alu instid0(VALU_DEP_2) | instskip(SKIP_4) | instid1(VALU_DEP_3)
	v_or_b32_e32 v0, v21, v8
	s_wait_alu 0xfffd
	v_cndmask_b32_e64 v4, 0, 1, vcc_lo
	v_lshl_or_b32 v8, v17, 12, v2
	v_cmp_gt_i32_e32 vcc_lo, 1, v17
	v_and_or_b32 v4, 0xffe, v18, v4
	v_sub_nc_u32_e32 v18, 0x3f1, v19
	s_wait_alu 0xfffd
	v_cndmask_b32_e32 v0, v8, v0, vcc_lo
	v_mul_f64_e32 v[8:9], s[8:9], v[12:13]
	v_add_co_u32 v6, vcc_lo, v6, s2
	v_or_b32_e32 v12, 0x1000, v4
	v_med3_i32 v13, v18, 0, 13
	v_lshl_or_b32 v18, v14, 16, v15
	v_and_b32_e32 v15, 0xffff, v29
	v_and_or_b32 v14, 0x8000, v20, v16
	v_and_b32_e32 v16, 7, v0
	v_lshrrev_b32_e32 v20, v13, v12
	s_wait_alu 0xfffd
	v_add_co_ci_u32_e32 v7, vcc_lo, s3, v7, vcc_lo
	v_lshrrev_b32_e32 v0, 2, v0
	v_cmp_lt_i32_e32 vcc_lo, 5, v16
	v_lshlrev_b32_e32 v13, v13, v20
	v_cmp_eq_u32_e64 s0, 3, v16
	v_lshrrev_b32_e32 v16, 16, v1
	v_lshl_or_b32 v21, v14, 16, v15
	s_delay_alu instid0(VALU_DEP_4) | instskip(NEXT) | instid1(VALU_DEP_4)
	v_cmp_ne_u32_e64 s1, v13, v12
	s_or_b32 vcc_lo, s0, vcc_lo
	s_delay_alu instid0(VALU_DEP_3)
	v_mul_f16_e32 v13, v31, v16
	s_wait_alu 0xfffe
	v_add_co_ci_u32_e32 v0, vcc_lo, 0, v0, vcc_lo
	v_cndmask_b32_e64 v12, 0, 1, s1
	v_cmp_ne_u32_e32 vcc_lo, 0, v2
	v_fmac_f16_e32 v13, v25, v1
	v_mul_f64_e32 v[10:11], s[8:9], v[10:11]
	s_delay_alu instid0(VALU_DEP_4) | instskip(SKIP_3) | instid1(VALU_DEP_2)
	v_or_b32_e32 v12, v20, v12
	v_add_nc_u32_e32 v19, 0xfffffc10, v19
	s_wait_alu 0xfffd
	v_cndmask_b32_e64 v2, 0, 1, vcc_lo
	v_lshl_or_b32 v14, v19, 12, v4
	v_cmp_gt_i32_e32 vcc_lo, 1, v19
	s_delay_alu instid0(VALU_DEP_3)
	v_lshl_or_b32 v2, v2, 9, 0x7c00
	v_and_or_b32 v8, 0x1ff, v9, v8
	s_wait_alu 0xfffd
	v_cndmask_b32_e32 v20, v14, v12, vcc_lo
	v_cvt_f32_f16_e32 v12, v13
	v_cmp_gt_i32_e32 vcc_lo, 31, v17
	v_cmp_ne_u32_e64 s0, 0, v8
	v_lshrrev_b32_e32 v8, 8, v9
	v_and_b32_e32 v22, 7, v20
	v_cvt_f64_f32_e32 v[12:13], v12
	s_wait_alu 0xfffd
	v_cndmask_b32_e32 v0, 0x7c00, v0, vcc_lo
	v_add_co_u32 v14, vcc_lo, v6, s2
	s_wait_alu 0xfffd
	v_add_co_ci_u32_e32 v15, vcc_lo, s3, v7, vcc_lo
	v_cmp_eq_u32_e32 vcc_lo, 0x40f, v17
	v_lshrrev_b32_e32 v20, 2, v20
	v_bfe_u32 v17, v9, 20, 11
	v_lshrrev_b32_e32 v9, 16, v9
	s_wait_alu 0xfffd
	v_cndmask_b32_e32 v0, v0, v2, vcc_lo
	v_cmp_lt_i32_e32 vcc_lo, 5, v22
	s_wait_alu 0xf1ff
	v_cndmask_b32_e64 v2, 0, 1, s0
	v_cmp_eq_u32_e64 s0, 3, v22
	v_and_or_b32 v27, 0x8000, v3, v0
	v_mul_f16_e32 v3, v31, v1
	v_and_or_b32 v0, 0x1ff, v11, v10
	s_delay_alu instid0(VALU_DEP_4)
	s_or_b32 vcc_lo, s0, vcc_lo
	v_and_or_b32 v8, 0xffe, v8, v2
	s_wait_alu 0xfffe
	v_add_co_ci_u32_e32 v20, vcc_lo, 0, v20, vcc_lo
	v_cmp_ne_u32_e32 vcc_lo, 0, v4
	v_sub_nc_u32_e32 v2, 0x3f1, v17
	v_or_b32_e32 v22, 0x1000, v8
	v_fma_f16 v3, v25, v16, -v3
	v_add_nc_u32_e32 v16, 0xfffffc10, v17
	s_wait_alu 0xfffd
	v_cndmask_b32_e64 v4, 0, 1, vcc_lo
	v_cmp_gt_i32_e32 vcc_lo, 31, v19
	v_med3_i32 v2, v2, 0, 13
	v_cmp_eq_u32_e64 s1, 0x40f, v16
	s_delay_alu instid0(VALU_DEP_4)
	v_lshl_or_b32 v4, v4, 9, 0x7c00
	s_wait_alu 0xfffd
	v_cndmask_b32_e32 v20, 0x7c00, v20, vcc_lo
	v_cmp_eq_u32_e32 vcc_lo, 0x40f, v19
	v_lshrrev_b32_e32 v29, v2, v22
	v_lshrrev_b32_e32 v19, 16, v5
	;; [unrolled: 1-line block ×3, first 2 shown]
	s_wait_alu 0xfffd
	v_cndmask_b32_e32 v10, v20, v4, vcc_lo
	v_cmp_ne_u32_e32 vcc_lo, 0, v0
	v_mul_f64_e32 v[0:1], s[8:9], v[12:13]
	v_lshlrev_b32_e32 v2, v2, v29
	v_bfe_u32 v20, v11, 20, 11
	v_and_or_b32 v10, 0x8000, v19, v10
	v_and_b32_e32 v19, 0xffff, v27
	s_wait_alu 0xfffd
	v_cndmask_b32_e64 v4, 0, 1, vcc_lo
	v_cmp_ne_u32_e32 vcc_lo, v2, v22
	v_sub_nc_u32_e32 v13, 0x3f1, v20
	v_lshl_or_b32 v22, v16, 12, v8
	v_lshrrev_b32_e32 v11, 16, v11
	v_and_or_b32 v17, 0xffe, v5, v4
	s_wait_alu 0xfffd
	v_cndmask_b32_e64 v12, 0, 1, vcc_lo
	v_cvt_f32_f16_e32 v4, v3
	ds_load_2addr_b32 v[2:3], v30 offset0:176 offset1:198
	v_med3_i32 v13, v13, 0, 13
	v_or_b32_e32 v25, 0x1000, v17
	v_or_b32_e32 v12, v29, v12
	v_cvt_f64_f32_e32 v[4:5], v4
	v_cmp_gt_i32_e32 vcc_lo, 1, v16
	s_clause 0x1
	global_store_b32 v[6:7], v18, off
	global_store_b32 v[14:15], v21, off
	v_lshl_or_b32 v18, v10, 16, v19
	v_bfe_u32 v21, v1, 20, 11
	s_wait_alu 0xfffd
	v_cndmask_b32_e32 v12, v22, v12, vcc_lo
	v_lshrrev_b32_e32 v22, v13, v25
	v_add_co_u32 v6, vcc_lo, v14, s2
	s_wait_dscnt 0x0
	v_lshrrev_b32_e32 v14, 16, v2
	v_and_b32_e32 v10, 7, v12
	v_lshlrev_b32_e32 v13, v13, v22
	s_wait_alu 0xfffd
	v_add_co_ci_u32_e32 v7, vcc_lo, s3, v15, vcc_lo
	v_mul_f16_e32 v19, v28, v14
	v_cmp_lt_i32_e32 vcc_lo, 5, v10
	v_cmp_ne_u32_e64 s0, v13, v25
	v_add_nc_u32_e32 v15, 0xfffffc10, v20
	v_and_or_b32 v0, 0x1ff, v1, v0
	v_fmac_f16_e32 v19, v24, v2
	v_mul_f16_e32 v2, v28, v2
	s_wait_alu 0xf1ff
	v_cndmask_b32_e64 v13, 0, 1, s0
	v_cmp_eq_u32_e64 s0, 3, v10
	v_lshrrev_b32_e32 v10, 2, v12
	v_cvt_f32_f16_e32 v19, v19
	v_mul_f64_e32 v[4:5], s[8:9], v[4:5]
	v_or_b32_e32 v12, v22, v13
	s_or_b32 vcc_lo, s0, vcc_lo
	v_lshl_or_b32 v13, v15, 12, v17
	s_wait_alu 0xfffe
	v_add_co_ci_u32_e32 v10, vcc_lo, 0, v10, vcc_lo
	v_cmp_gt_i32_e32 vcc_lo, 1, v15
	v_fma_f16 v2, v24, v14, -v2
	s_wait_alu 0xfffd
	v_cndmask_b32_e32 v20, v13, v12, vcc_lo
	v_cmp_ne_u32_e32 vcc_lo, 0, v0
	v_cvt_f64_f32_e32 v[12:13], v19
	v_lshrrev_b32_e32 v19, 8, v1
	v_cvt_f32_f16_e32 v2, v2
	v_and_b32_e32 v22, 7, v20
	s_wait_alu 0xfffd
	v_cndmask_b32_e64 v0, 0, 1, vcc_lo
	v_cmp_ne_u32_e32 vcc_lo, 0, v8
	v_lshrrev_b32_e32 v20, 2, v20
	v_cmp_eq_u32_e64 s0, 3, v22
	s_delay_alu instid0(VALU_DEP_4)
	v_and_or_b32 v0, 0xffe, v19, v0
	s_wait_alu 0xfffd
	v_cndmask_b32_e64 v8, 0, 1, vcc_lo
	v_cmp_gt_i32_e32 vcc_lo, 31, v16
	v_sub_nc_u32_e32 v19, 0x3f1, v21
	v_add_nc_u32_e32 v21, 0xfffffc10, v21
	v_or_b32_e32 v25, 0x1000, v0
	v_lshl_or_b32 v8, v8, 9, 0x7c00
	s_wait_alu 0xfffd
	v_cndmask_b32_e32 v10, 0x7c00, v10, vcc_lo
	v_cmp_lt_i32_e32 vcc_lo, 5, v22
	v_med3_i32 v19, v19, 0, 13
	s_delay_alu instid0(VALU_DEP_3) | instskip(SKIP_1) | instid1(VALU_DEP_2)
	v_cndmask_b32_e64 v8, v10, v8, s1
	s_or_b32 vcc_lo, s0, vcc_lo
	v_lshrrev_b32_e32 v10, v19, v25
	s_wait_alu 0xfffe
	v_add_co_ci_u32_e32 v16, vcc_lo, 0, v20, vcc_lo
	v_cmp_ne_u32_e32 vcc_lo, 0, v17
	v_and_or_b32 v20, 0x8000, v9, v8
	v_lshlrev_b32_e32 v19, v19, v10
	v_and_or_b32 v4, 0x1ff, v5, v4
	v_bfe_u32 v14, v5, 20, 11
	s_wait_alu 0xfffd
	v_cndmask_b32_e64 v17, 0, 1, vcc_lo
	v_cmp_gt_i32_e32 vcc_lo, 31, v15
	s_delay_alu instid0(VALU_DEP_2)
	v_lshl_or_b32 v17, v17, 9, 0x7c00
	s_wait_alu 0xfffd
	v_cndmask_b32_e32 v16, 0x7c00, v16, vcc_lo
	v_cmp_ne_u32_e32 vcc_lo, v19, v25
	v_mul_f64_e32 v[8:9], s[8:9], v[12:13]
	v_lshl_or_b32 v12, v21, 12, v0
	v_lshrrev_b32_e32 v13, 8, v5
	s_wait_alu 0xfffd
	v_cndmask_b32_e64 v19, 0, 1, vcc_lo
	v_cmp_eq_u32_e32 vcc_lo, 0x40f, v15
	s_delay_alu instid0(VALU_DEP_2) | instskip(SKIP_4) | instid1(VALU_DEP_3)
	v_or_b32_e32 v10, v10, v19
	s_wait_alu 0xfffd
	v_cndmask_b32_e32 v15, v16, v17, vcc_lo
	v_cmp_gt_i32_e32 vcc_lo, 1, v21
	v_lshrrev_b32_e32 v17, 16, v3
	v_and_or_b32 v15, 0x8000, v11, v15
	s_wait_alu 0xfffd
	v_cndmask_b32_e32 v12, v12, v10, vcc_lo
	v_cmp_ne_u32_e32 vcc_lo, 0, v4
	v_cvt_f64_f32_e32 v[10:11], v2
	v_sub_nc_u32_e32 v2, 0x3f1, v14
	v_add_nc_u32_e32 v14, 0xfffffc10, v14
	v_and_b32_e32 v16, 7, v12
	s_wait_alu 0xfffd
	v_cndmask_b32_e64 v4, 0, 1, vcc_lo
	v_lshrrev_b32_e32 v12, 2, v12
	v_med3_i32 v2, v2, 0, 13
	v_cmp_lt_i32_e32 vcc_lo, 5, v16
	s_delay_alu instid0(VALU_DEP_4) | instskip(SKIP_3) | instid1(VALU_DEP_4)
	v_and_or_b32 v4, 0xffe, v13, v4
	v_cmp_eq_u32_e64 s0, 3, v16
	v_and_b32_e32 v13, 0xffff, v20
	v_mul_f16_e32 v20, v26, v17
	v_or_b32_e32 v19, 0x1000, v4
	s_delay_alu instid0(VALU_DEP_4) | instskip(NEXT) | instid1(VALU_DEP_3)
	s_or_b32 vcc_lo, s0, vcc_lo
	v_lshl_or_b32 v15, v15, 16, v13
	s_wait_alu 0xfffe
	v_add_co_ci_u32_e32 v12, vcc_lo, 0, v12, vcc_lo
	v_lshrrev_b32_e32 v16, v2, v19
	v_fmac_f16_e32 v20, v23, v3
	v_cmp_ne_u32_e32 vcc_lo, 0, v0
	v_and_or_b32 v8, 0x1ff, v9, v8
	v_mul_f16_e32 v3, v26, v3
	v_lshlrev_b32_e32 v2, v2, v16
	v_cvt_f32_f16_e32 v13, v20
	s_wait_alu 0xfffd
	v_cndmask_b32_e64 v0, 0, 1, vcc_lo
	v_cmp_gt_i32_e32 vcc_lo, 31, v21
	v_bfe_u32 v22, v9, 20, 11
	v_fma_f16 v17, v23, v17, -v3
	v_lshl_or_b32 v23, v14, 12, v4
	v_lshl_or_b32 v0, v0, 9, 0x7c00
	s_wait_alu 0xfffd
	v_cndmask_b32_e32 v20, 0x7c00, v12, vcc_lo
	v_cvt_f64_f32_e32 v[12:13], v13
	v_cmp_ne_u32_e32 vcc_lo, v2, v19
	v_lshrrev_b32_e32 v19, 8, v9
	v_lshrrev_b32_e32 v9, 16, v9
	s_wait_alu 0xfffd
	v_cndmask_b32_e64 v2, 0, 1, vcc_lo
	v_cmp_ne_u32_e32 vcc_lo, 0, v8
	s_delay_alu instid0(VALU_DEP_2)
	v_or_b32_e32 v16, v16, v2
	s_wait_alu 0xfffd
	v_cndmask_b32_e64 v8, 0, 1, vcc_lo
	v_cmp_gt_i32_e32 vcc_lo, 1, v14
	v_mul_f64_e32 v[2:3], s[8:9], v[10:11]
	v_sub_nc_u32_e32 v10, 0x3f1, v22
	v_cvt_f32_f16_e32 v11, v17
	v_and_or_b32 v8, 0xffe, v19, v8
	s_wait_alu 0xfffd
	v_cndmask_b32_e32 v16, v23, v16, vcc_lo
	v_cmp_eq_u32_e32 vcc_lo, 0x40f, v21
	v_med3_i32 v19, v10, 0, 13
	v_cvt_f64_f32_e32 v[10:11], v11
	v_or_b32_e32 v17, 0x1000, v8
	v_and_b32_e32 v23, 7, v16
	s_wait_alu 0xfffd
	v_cndmask_b32_e32 v20, v20, v0, vcc_lo
	v_add_co_u32 v0, vcc_lo, v6, s2
	v_lshrrev_b32_e32 v24, v19, v17
	v_lshrrev_b32_e32 v21, 16, v1
	s_wait_alu 0xfffd
	v_add_co_ci_u32_e32 v1, vcc_lo, s3, v7, vcc_lo
	v_cmp_lt_i32_e32 vcc_lo, 5, v23
	v_cmp_eq_u32_e64 s0, 3, v23
	v_lshrrev_b32_e32 v16, 2, v16
	v_lshlrev_b32_e32 v19, v19, v24
	v_and_or_b32 v20, 0x8000, v21, v20
	s_delay_alu instid0(VALU_DEP_4)
	s_or_b32 vcc_lo, s0, vcc_lo
	v_mul_f64_e32 v[12:13], s[8:9], v[12:13]
	s_wait_alu 0xfffe
	v_add_co_ci_u32_e32 v16, vcc_lo, 0, v16, vcc_lo
	v_cmp_ne_u32_e64 s1, v19, v17
	v_cmp_ne_u32_e32 vcc_lo, 0, v4
	v_add_nc_u32_e32 v19, 0xfffffc10, v22
	s_wait_alu 0xf1ff
	s_delay_alu instid0(VALU_DEP_3)
	v_cndmask_b32_e64 v17, 0, 1, s1
	s_wait_alu 0xfffd
	v_cndmask_b32_e64 v4, 0, 1, vcc_lo
	v_cmp_gt_i32_e32 vcc_lo, 31, v14
	v_lshl_or_b32 v21, v19, 12, v8
	v_or_b32_e32 v17, v24, v17
	s_delay_alu instid0(VALU_DEP_4)
	v_lshl_or_b32 v4, v4, 9, 0x7c00
	s_wait_alu 0xfffd
	v_cndmask_b32_e32 v16, 0x7c00, v16, vcc_lo
	v_cmp_gt_i32_e32 vcc_lo, 1, v19
	v_and_or_b32 v2, 0x1ff, v3, v2
	v_lshrrev_b32_e32 v22, 8, v3
	s_wait_alu 0xfffd
	v_cndmask_b32_e32 v17, v21, v17, vcc_lo
	v_cmp_eq_u32_e32 vcc_lo, 0x40f, v14
	s_wait_alu 0xfffd
	s_delay_alu instid0(VALU_DEP_2)
	v_dual_cndmask_b32 v14, v16, v4 :: v_dual_and_b32 v21, 7, v17
	v_lshrrev_b32_e32 v16, 16, v5
	v_cmp_ne_u32_e32 vcc_lo, 0, v2
	v_mul_f64_e32 v[4:5], s[8:9], v[10:11]
	v_bfe_u32 v10, v3, 20, 11
	v_cmp_eq_u32_e64 s0, 3, v21
	v_and_or_b32 v11, 0x8000, v16, v14
	v_and_b32_e32 v14, 0xffff, v20
	s_wait_alu 0xfffd
	v_cndmask_b32_e64 v2, 0, 1, vcc_lo
	v_cmp_lt_i32_e32 vcc_lo, 5, v21
	v_sub_nc_u32_e32 v16, 0x3f1, v10
	v_and_or_b32 v12, 0x1ff, v13, v12
	v_lshl_or_b32 v11, v11, 16, v14
	v_lshrrev_b32_e32 v14, 2, v17
	v_and_or_b32 v2, 0xffe, v22, v2
	s_or_b32 vcc_lo, s0, vcc_lo
	v_med3_i32 v16, v16, 0, 13
	v_lshrrev_b32_e32 v21, 8, v13
	s_wait_alu 0xfffe
	v_add_co_ci_u32_e32 v14, vcc_lo, 0, v14, vcc_lo
	v_or_b32_e32 v17, 0x1000, v2
	v_cmp_ne_u32_e32 vcc_lo, 0, v8
	v_bfe_u32 v22, v13, 20, 11
	v_add_nc_u32_e32 v10, 0xfffffc10, v10
	v_lshrrev_b32_e32 v3, 16, v3
	v_lshrrev_b32_e32 v20, v16, v17
	s_wait_alu 0xfffd
	v_cndmask_b32_e64 v8, 0, 1, vcc_lo
	v_cmp_gt_i32_e32 vcc_lo, 31, v19
	s_delay_alu instid0(VALU_DEP_3) | instskip(NEXT) | instid1(VALU_DEP_3)
	v_lshlrev_b32_e32 v16, v16, v20
	v_lshl_or_b32 v8, v8, 9, 0x7c00
	s_wait_alu 0xfffd
	v_cndmask_b32_e32 v14, 0x7c00, v14, vcc_lo
	v_cmp_ne_u32_e32 vcc_lo, 0, v12
	s_wait_alu 0xfffd
	v_cndmask_b32_e64 v12, 0, 1, vcc_lo
	v_cmp_ne_u32_e32 vcc_lo, v16, v17
	v_sub_nc_u32_e32 v17, 0x3f1, v22
	v_and_or_b32 v4, 0x1ff, v5, v4
	s_delay_alu instid0(VALU_DEP_4)
	v_and_or_b32 v12, 0xffe, v21, v12
	s_wait_alu 0xfffd
	v_cndmask_b32_e64 v16, 0, 1, vcc_lo
	v_cmp_eq_u32_e32 vcc_lo, 0x40f, v19
	v_med3_i32 v17, v17, 0, 13
	v_bfe_u32 v21, v5, 20, 11
	v_or_b32_e32 v19, 0x1000, v12
	s_wait_alu 0xfffd
	v_cndmask_b32_e32 v8, v14, v8, vcc_lo
	v_or_b32_e32 v14, v20, v16
	v_lshl_or_b32 v16, v10, 12, v2
	v_cmp_gt_i32_e32 vcc_lo, 1, v10
	v_lshrrev_b32_e32 v20, 8, v5
	v_and_or_b32 v8, 0x8000, v9, v8
	v_sub_nc_u32_e32 v9, 0x3f1, v21
	v_lshrrev_b32_e32 v5, 16, v5
	s_wait_alu 0xfffd
	v_cndmask_b32_e32 v14, v16, v14, vcc_lo
	v_lshrrev_b32_e32 v16, v17, v19
	v_cmp_ne_u32_e32 vcc_lo, 0, v4
	v_med3_i32 v9, v9, 0, 13
	v_and_b32_e32 v8, 0xffff, v8
	v_and_b32_e32 v23, 7, v14
	v_lshlrev_b32_e32 v17, v17, v16
	s_wait_alu 0xfffd
	v_cndmask_b32_e64 v4, 0, 1, vcc_lo
	v_lshrrev_b32_e32 v14, 2, v14
	v_cmp_lt_i32_e32 vcc_lo, 5, v23
	v_cmp_ne_u32_e64 s0, v17, v19
	s_delay_alu instid0(VALU_DEP_4) | instskip(SKIP_2) | instid1(VALU_DEP_3)
	v_and_or_b32 v4, 0xffe, v20, v4
	v_add_nc_u32_e32 v20, 0xfffffc10, v22
	s_wait_alu 0xf1ff
	v_cndmask_b32_e64 v17, 0, 1, s0
	v_cmp_eq_u32_e64 s0, 3, v23
	v_or_b32_e32 v19, 0x1000, v4
	v_lshl_or_b32 v22, v20, 12, v12
	s_delay_alu instid0(VALU_DEP_4) | instskip(NEXT) | instid1(VALU_DEP_4)
	v_or_b32_e32 v16, v16, v17
	s_or_b32 vcc_lo, s0, vcc_lo
	s_delay_alu instid0(VALU_DEP_3)
	v_lshrrev_b32_e32 v17, v9, v19
	s_wait_alu 0xfffe
	v_add_co_ci_u32_e32 v14, vcc_lo, 0, v14, vcc_lo
	v_cmp_gt_i32_e32 vcc_lo, 1, v20
	s_wait_alu 0xfffd
	v_dual_cndmask_b32 v16, v22, v16 :: v_dual_lshlrev_b32 v9, v9, v17
	v_cmp_ne_u32_e32 vcc_lo, 0, v2
	s_wait_alu 0xfffd
	v_cndmask_b32_e64 v2, 0, 1, vcc_lo
	s_delay_alu instid0(VALU_DEP_3) | instskip(SKIP_2) | instid1(VALU_DEP_4)
	v_cmp_ne_u32_e32 vcc_lo, v9, v19
	v_add_nc_u32_e32 v19, 0xfffffc10, v21
	v_and_b32_e32 v21, 7, v16
	v_lshl_or_b32 v2, v2, 9, 0x7c00
	s_wait_alu 0xfffd
	v_cndmask_b32_e64 v9, 0, 1, vcc_lo
	v_cmp_gt_i32_e32 vcc_lo, 31, v10
	v_cmp_gt_i32_e64 s1, 1, v19
	v_cmp_eq_u32_e64 s0, 3, v21
	s_delay_alu instid0(VALU_DEP_4)
	v_or_b32_e32 v9, v17, v9
	s_wait_alu 0xfffd
	v_cndmask_b32_e32 v14, 0x7c00, v14, vcc_lo
	v_lshl_or_b32 v17, v19, 12, v4
	v_cmp_lt_i32_e32 vcc_lo, 5, v21
	s_wait_alu 0xf1ff
	s_delay_alu instid0(VALU_DEP_2) | instskip(SKIP_3) | instid1(VALU_DEP_2)
	v_cndmask_b32_e64 v9, v17, v9, s1
	v_cmp_eq_u32_e64 s1, 0x40f, v10
	v_lshrrev_b32_e32 v10, 2, v16
	s_or_b32 vcc_lo, s0, vcc_lo
	v_cndmask_b32_e64 v2, v14, v2, s1
	s_wait_alu 0xfffe
	s_delay_alu instid0(VALU_DEP_2) | instskip(SKIP_4) | instid1(VALU_DEP_4)
	v_add_co_ci_u32_e32 v10, vcc_lo, 0, v10, vcc_lo
	v_and_b32_e32 v14, 7, v9
	v_cmp_ne_u32_e32 vcc_lo, 0, v12
	v_lshrrev_b32_e32 v9, 2, v9
	v_cmp_gt_i32_e64 s1, 31, v20
	v_cmp_eq_u32_e64 s0, 3, v14
	s_wait_alu 0xfffd
	v_cndmask_b32_e64 v12, 0, 1, vcc_lo
	v_cmp_lt_i32_e32 vcc_lo, 5, v14
	s_wait_alu 0xf1ff
	v_cndmask_b32_e64 v10, 0x7c00, v10, s1
	s_delay_alu instid0(VALU_DEP_3)
	v_lshl_or_b32 v12, v12, 9, 0x7c00
	s_or_b32 vcc_lo, s0, vcc_lo
	s_wait_alu 0xfffe
	v_add_co_ci_u32_e32 v9, vcc_lo, 0, v9, vcc_lo
	v_cmp_ne_u32_e32 vcc_lo, 0, v4
	s_wait_alu 0xfffd
	v_cndmask_b32_e64 v4, 0, 1, vcc_lo
	v_cmp_eq_u32_e32 vcc_lo, 0x40f, v20
	s_delay_alu instid0(VALU_DEP_2)
	v_lshl_or_b32 v4, v4, 9, 0x7c00
	s_wait_alu 0xfffd
	v_cndmask_b32_e32 v10, v10, v12, vcc_lo
	v_cmp_gt_i32_e32 vcc_lo, 31, v19
	v_lshrrev_b32_e32 v12, 16, v13
	v_and_or_b32 v13, 0x8000, v3, v2
	s_wait_alu 0xfffd
	v_cndmask_b32_e32 v9, 0x7c00, v9, vcc_lo
	v_cmp_eq_u32_e32 vcc_lo, 0x40f, v19
	v_and_or_b32 v10, 0x8000, v12, v10
	v_lshl_or_b32 v12, v13, 16, v8
	s_wait_alu 0xfffd
	v_cndmask_b32_e32 v4, v9, v4, vcc_lo
	v_add_co_u32 v2, vcc_lo, v0, s2
	s_wait_alu 0xfffd
	v_add_co_ci_u32_e32 v3, vcc_lo, s3, v1, vcc_lo
	s_delay_alu instid0(VALU_DEP_3) | instskip(SKIP_4) | instid1(VALU_DEP_3)
	v_and_or_b32 v8, 0x8000, v5, v4
	v_and_b32_e32 v9, 0xffff, v10
	v_add_co_u32 v4, vcc_lo, v2, s2
	s_wait_alu 0xfffd
	v_add_co_ci_u32_e32 v5, vcc_lo, s3, v3, vcc_lo
	v_lshl_or_b32 v10, v8, 16, v9
	s_delay_alu instid0(VALU_DEP_3) | instskip(SKIP_1) | instid1(VALU_DEP_3)
	v_add_co_u32 v8, vcc_lo, v4, s2
	s_wait_alu 0xfffd
	v_add_co_ci_u32_e32 v9, vcc_lo, s3, v5, vcc_lo
	global_store_b32 v[6:7], v18, off
	global_store_b32 v[0:1], v15, off
	;; [unrolled: 1-line block ×5, first 2 shown]
.LBB0_10:
	s_nop 0
	s_sendmsg sendmsg(MSG_DEALLOC_VGPRS)
	s_endpgm
	.section	.rodata,"a",@progbits
	.p2align	6, 0x0
	.amdhsa_kernel bluestein_single_back_len220_dim1_half_op_CI_CI
		.amdhsa_group_segment_fixed_size 4400
		.amdhsa_private_segment_fixed_size 0
		.amdhsa_kernarg_size 104
		.amdhsa_user_sgpr_count 2
		.amdhsa_user_sgpr_dispatch_ptr 0
		.amdhsa_user_sgpr_queue_ptr 0
		.amdhsa_user_sgpr_kernarg_segment_ptr 1
		.amdhsa_user_sgpr_dispatch_id 0
		.amdhsa_user_sgpr_private_segment_size 0
		.amdhsa_wavefront_size32 1
		.amdhsa_uses_dynamic_stack 0
		.amdhsa_enable_private_segment 0
		.amdhsa_system_sgpr_workgroup_id_x 1
		.amdhsa_system_sgpr_workgroup_id_y 0
		.amdhsa_system_sgpr_workgroup_id_z 0
		.amdhsa_system_sgpr_workgroup_info 0
		.amdhsa_system_vgpr_workitem_id 0
		.amdhsa_next_free_vgpr 167
		.amdhsa_next_free_sgpr 20
		.amdhsa_reserve_vcc 1
		.amdhsa_float_round_mode_32 0
		.amdhsa_float_round_mode_16_64 0
		.amdhsa_float_denorm_mode_32 3
		.amdhsa_float_denorm_mode_16_64 3
		.amdhsa_fp16_overflow 0
		.amdhsa_workgroup_processor_mode 1
		.amdhsa_memory_ordered 1
		.amdhsa_forward_progress 0
		.amdhsa_round_robin_scheduling 0
		.amdhsa_exception_fp_ieee_invalid_op 0
		.amdhsa_exception_fp_denorm_src 0
		.amdhsa_exception_fp_ieee_div_zero 0
		.amdhsa_exception_fp_ieee_overflow 0
		.amdhsa_exception_fp_ieee_underflow 0
		.amdhsa_exception_fp_ieee_inexact 0
		.amdhsa_exception_int_div_zero 0
	.end_amdhsa_kernel
	.text
.Lfunc_end0:
	.size	bluestein_single_back_len220_dim1_half_op_CI_CI, .Lfunc_end0-bluestein_single_back_len220_dim1_half_op_CI_CI
                                        ; -- End function
	.section	.AMDGPU.csdata,"",@progbits
; Kernel info:
; codeLenInByte = 17528
; NumSgprs: 22
; NumVgprs: 167
; ScratchSize: 0
; MemoryBound: 0
; FloatMode: 240
; IeeeMode: 1
; LDSByteSize: 4400 bytes/workgroup (compile time only)
; SGPRBlocks: 2
; VGPRBlocks: 20
; NumSGPRsForWavesPerEU: 22
; NumVGPRsForWavesPerEU: 167
; Occupancy: 9
; WaveLimiterHint : 1
; COMPUTE_PGM_RSRC2:SCRATCH_EN: 0
; COMPUTE_PGM_RSRC2:USER_SGPR: 2
; COMPUTE_PGM_RSRC2:TRAP_HANDLER: 0
; COMPUTE_PGM_RSRC2:TGID_X_EN: 1
; COMPUTE_PGM_RSRC2:TGID_Y_EN: 0
; COMPUTE_PGM_RSRC2:TGID_Z_EN: 0
; COMPUTE_PGM_RSRC2:TIDIG_COMP_CNT: 0
	.text
	.p2alignl 7, 3214868480
	.fill 96, 4, 3214868480
	.type	__hip_cuid_c58ed8b26decef3d,@object ; @__hip_cuid_c58ed8b26decef3d
	.section	.bss,"aw",@nobits
	.globl	__hip_cuid_c58ed8b26decef3d
__hip_cuid_c58ed8b26decef3d:
	.byte	0                               ; 0x0
	.size	__hip_cuid_c58ed8b26decef3d, 1

	.ident	"AMD clang version 19.0.0git (https://github.com/RadeonOpenCompute/llvm-project roc-6.4.0 25133 c7fe45cf4b819c5991fe208aaa96edf142730f1d)"
	.section	".note.GNU-stack","",@progbits
	.addrsig
	.addrsig_sym __hip_cuid_c58ed8b26decef3d
	.amdgpu_metadata
---
amdhsa.kernels:
  - .args:
      - .actual_access:  read_only
        .address_space:  global
        .offset:         0
        .size:           8
        .value_kind:     global_buffer
      - .actual_access:  read_only
        .address_space:  global
        .offset:         8
        .size:           8
        .value_kind:     global_buffer
      - .actual_access:  read_only
        .address_space:  global
        .offset:         16
        .size:           8
        .value_kind:     global_buffer
      - .actual_access:  read_only
        .address_space:  global
        .offset:         24
        .size:           8
        .value_kind:     global_buffer
      - .actual_access:  read_only
        .address_space:  global
        .offset:         32
        .size:           8
        .value_kind:     global_buffer
      - .offset:         40
        .size:           8
        .value_kind:     by_value
      - .address_space:  global
        .offset:         48
        .size:           8
        .value_kind:     global_buffer
      - .address_space:  global
        .offset:         56
        .size:           8
        .value_kind:     global_buffer
      - .address_space:  global
        .offset:         64
        .size:           8
        .value_kind:     global_buffer
      - .address_space:  global
        .offset:         72
        .size:           8
        .value_kind:     global_buffer
      - .offset:         80
        .size:           4
        .value_kind:     by_value
      - .address_space:  global
        .offset:         88
        .size:           8
        .value_kind:     global_buffer
      - .address_space:  global
        .offset:         96
        .size:           8
        .value_kind:     global_buffer
    .group_segment_fixed_size: 4400
    .kernarg_segment_align: 8
    .kernarg_segment_size: 104
    .language:       OpenCL C
    .language_version:
      - 2
      - 0
    .max_flat_workgroup_size: 110
    .name:           bluestein_single_back_len220_dim1_half_op_CI_CI
    .private_segment_fixed_size: 0
    .sgpr_count:     22
    .sgpr_spill_count: 0
    .symbol:         bluestein_single_back_len220_dim1_half_op_CI_CI.kd
    .uniform_work_group_size: 1
    .uses_dynamic_stack: false
    .vgpr_count:     167
    .vgpr_spill_count: 0
    .wavefront_size: 32
    .workgroup_processor_mode: 1
amdhsa.target:   amdgcn-amd-amdhsa--gfx1201
amdhsa.version:
  - 1
  - 2
...

	.end_amdgpu_metadata
